;; amdgpu-corpus repo=zjin-lcf/HeCBench kind=compiled arch=gfx1250 opt=O3
	.amdgcn_target "amdgcn-amd-amdhsa--gfx1250"
	.amdhsa_code_object_version 6
	.section	.text._ZL11MPCcompressILi64EEviPlS0_PVih,"axG",@progbits,_ZL11MPCcompressILi64EEviPlS0_PVih,comdat
	.globl	_ZL11MPCcompressILi64EEviPlS0_PVih ; -- Begin function _ZL11MPCcompressILi64EEviPlS0_PVih
	.p2align	8
	.type	_ZL11MPCcompressILi64EEviPlS0_PVih,@function
_ZL11MPCcompressILi64EEviPlS0_PVih:     ; @_ZL11MPCcompressILi64EEviPlS0_PVih
; %bb.0:
	s_load_b32 s22, s[0:1], 0x0
	s_bfe_u32 s2, ttmp6, 0x4000c
	s_and_b32 s3, ttmp6, 15
	s_add_co_i32 s2, s2, 1
	s_getreg_b32 s4, hwreg(HW_REG_IB_STS2, 6, 4)
	s_mul_i32 s2, ttmp9, s2
	s_delay_alu instid0(SALU_CYCLE_1) | instskip(SKIP_4) | instid1(SALU_CYCLE_1)
	s_add_co_i32 s3, s3, s2
	s_cmp_eq_u32 s4, 0
	s_cselect_b32 s20, ttmp9, s3
	s_wait_kmcnt 0x0
	s_add_co_i32 s2, s22, 0x3ff
	s_ashr_i32 s3, s2, 31
	s_delay_alu instid0(SALU_CYCLE_1) | instskip(NEXT) | instid1(SALU_CYCLE_1)
	s_lshr_b32 s3, s3, 22
	s_add_co_i32 s2, s2, s3
	s_delay_alu instid0(SALU_CYCLE_1) | instskip(NEXT) | instid1(SALU_CYCLE_1)
	s_ashr_i32 s23, s2, 10
	s_cmp_ge_i32 s20, s23
	s_cbranch_scc1 .LBB0_31
; %bb.1:
	s_clause 0x2
	s_load_b32 s24, s[0:1], 0x28
	s_load_b128 s[12:15], s[0:1], 0x8
	s_load_b96 s[16:18], s[0:1], 0x18
	s_wait_xcnt 0x0
	s_add_co_i32 s0, s22, 63
	v_mbcnt_lo_u32_b32 v4, -1, 0
	s_ashr_i32 s2, s0, 31
	s_add_co_i32 s1, s20, 1
	s_lshr_b32 s2, s2, 26
	s_add_co_i32 s25, s23, -1
	v_dual_add_nc_u32 v6, -1, v4 :: v_dual_add_nc_u32 v7, -2, v4
	s_add_co_i32 s0, s0, s2
	v_dual_lshlrev_b32 v1, 3, v0 :: v_dual_bitop2_b32 v2, 63, v0 bitop3:0x40
	s_ashr_i32 s26, s0, 6
	s_delay_alu instid0(VALU_DEP_2)
	v_cmp_gt_i32_e64 s0, 0, v6
	s_add_co_i32 s26, s26, 1
	v_dual_mov_b32 v5, 0 :: v_dual_add_nc_u32 v10, -8, v1
	v_or_b32_e32 v3, 0x2000, v1
	s_wait_kmcnt 0x0
	s_cmp_lg_u32 s1, s24
	v_cndmask_b32_e64 v6, v6, v4, s0
	s_cselect_b32 s10, s1, 0
	s_and_b32 s28, s18, 0xff
	v_cmp_gt_i32_e64 s0, 0, v7
	v_sub_co_u32 v8, s27, v0, s28
	s_ashr_i32 s21, s20, 31
	s_ashr_i32 s11, s10, 31
	v_cndmask_b32_e64 v7, v7, v4, s0
	v_dual_lshlrev_b32 v11, 3, v8 :: v_dual_lshlrev_b32 v12, 2, v6
	v_dual_add_nc_u32 v8, -4, v4 :: v_dual_add_nc_u32 v6, -8, v4
	v_cmp_eq_u32_e64 s0, 0, v2
	v_cmp_lt_u32_e64 s4, 15, v2
	v_cmp_lt_u32_e64 s5, 31, v2
	s_delay_alu instid0(VALU_DEP_4) | instskip(SKIP_4) | instid1(VALU_DEP_4)
	v_cmp_gt_i32_e64 s1, 0, v8
	v_cmp_gt_i32_e64 s2, 0, v6
	v_lshlrev_b32_e32 v13, 2, v7
	v_cmp_eq_u32_e64 s6, 63, v2
	v_cmp_gt_u32_e64 s7, 64, v0
	v_dual_cndmask_b32 v7, v8, v4, s1 :: v_dual_cndmask_b32 v6, v6, v4, s2
	v_add_nc_u32_e32 v8, -16, v4
	v_cmp_lt_u32_e64 s1, 1, v2
	v_cmp_lt_u32_e64 s2, 3, v2
	s_delay_alu instid0(VALU_DEP_4)
	v_dual_lshlrev_b32 v14, 2, v7 :: v_dual_lshlrev_b32 v15, 2, v6
	v_or_b32_e32 v7, 0xffffffe0, v4
	v_cmp_gt_i32_e64 s3, 0, v8
	v_cmp_lt_u32_e64 s8, 63, v0
	v_dual_mov_b32 v22, -1 :: v_dual_lshlrev_b32 v19, 2, v2
	v_cmp_eq_u32_e64 s9, 0x3ff, v0
	s_delay_alu instid0(VALU_DEP_4)
	v_cndmask_b32_e64 v6, v8, v4, s3
	v_cmp_gt_i32_e64 s3, 0, v7
	s_lshl_b64 s[18:19], s[20:21], 2
	s_lshl_b64 s[10:11], s[10:11], 2
	s_add_nc_u64 s[18:19], s[16:17], s[18:19]
	s_add_nc_u64 s[16:17], s[16:17], s[10:11]
	v_cndmask_b32_e64 v4, v7, v4, s3
	v_dual_lshrrev_b32 v7, 6, v0 :: v_dual_lshlrev_b32 v16, 2, v6
	v_cmp_lt_u32_e64 s3, 7, v2
	s_add_co_i32 s21, s28, 0x43504cff
	v_dual_lshlrev_b32 v17, 2, v4 :: v_dual_lshlrev_b32 v18, 2, v7
	v_lshl_or_b32 v21, v7, 9, 0x21c0
	v_cmp_ne_u32_e32 vcc_lo, 0, v0
	s_delay_alu instid0(VALU_DEP_3)
	v_add_nc_u32_e32 v20, -4, v18
	s_branch .LBB0_3
.LBB0_2:                                ;   in Loop: Header=BB0_3 Depth=1
	s_wait_xcnt 0x0
	s_or_b32 exec_lo, exec_lo, s11
	s_add_co_i32 s20, s20, s24
	s_delay_alu instid0(SALU_CYCLE_1)
	s_cmp_ge_i32 s20, s23
	s_cbranch_scc1 .LBB0_31
.LBB0_3:                                ; =>This Loop Header: Depth=1
                                        ;     Child Loop BB0_8 Depth 2
                                        ;     Child Loop BB0_24 Depth 2
	v_lshl_or_b32 v4, s20, 10, v0
	v_mov_b64_e32 v[8:9], 0
	s_delay_alu instid0(VALU_DEP_2)
	v_cmp_le_i32_e64 s11, s22, v4
	v_cmp_gt_i32_e64 s10, s22, v4
	s_and_saveexec_b32 s28, s10
	s_cbranch_execz .LBB0_5
; %bb.4:                                ;   in Loop: Header=BB0_3 Depth=1
	global_load_b64 v[8:9], v4, s[12:13] scale_offset
	s_wait_loadcnt 0x0
	ds_store_b64 v1, v[8:9]
.LBB0_5:                                ;   in Loop: Header=BB0_3 Depth=1
	s_wait_xcnt 0x0
	s_or_b32 exec_lo, exec_lo, s28
	s_nor_b32 s28, s27, s11
	s_wait_dscnt 0x0
	s_barrier_signal -1
	s_barrier_wait -1
	s_and_saveexec_b32 s11, s28
	s_cbranch_execz .LBB0_7
; %bb.6:                                ;   in Loop: Header=BB0_3 Depth=1
	ds_load_b64 v[6:7], v11
	s_wait_dscnt 0x0
	v_sub_nc_u64_e32 v[8:9], v[8:9], v[6:7]
.LBB0_7:                                ;   in Loop: Header=BB0_3 Depth=1
	s_or_b32 exec_lo, exec_lo, s11
	v_mov_b64_e32 v[6:7], 0
	s_mov_b32 s11, 0
	ds_store_b64 v3, v[8:9]
	s_wait_dscnt 0x0
	s_barrier_signal -1
	s_barrier_wait -1
.LBB0_8:                                ;   Parent Loop BB0_3 Depth=1
                                        ; =>  This Inner Loop Header: Depth=2
	v_add_nc_u32_e32 v23, s11, v21
	s_sub_co_i32 s11, s11, 64
	ds_load_2addr_b64 v[24:27], v23 offset0:6 offset1:7
	ds_load_2addr_b64 v[28:31], v23 offset0:4 offset1:5
	s_cmp_eq_u32 s11, 0xfffffe00
	s_wait_dscnt 0x1
	v_lshrrev_b64 v[8:9], v2, v[26:27]
	v_lshlrev_b64_e32 v[26:27], 2, v[6:7]
	v_lshrrev_b64 v[6:7], v2, v[24:25]
	s_wait_dscnt 0x0
	v_lshrrev_b64 v[24:25], v2, v[30:31]
	v_lshrrev_b64 v[28:29], v2, v[28:29]
	s_delay_alu instid0(VALU_DEP_3) | instskip(NEXT) | instid1(VALU_DEP_3)
	v_dual_lshlrev_b32 v7, 1, v8 :: v_dual_bitop2_b32 v32, 1, v6 bitop3:0x40
	v_lshlrev_b32_e32 v24, 1, v24
	s_delay_alu instid0(VALU_DEP_3) | instskip(NEXT) | instid1(VALU_DEP_3)
	v_and_b32_e32 v28, 1, v28
	v_and_or_b32 v26, v7, 2, v26
	ds_load_2addr_b64 v[6:9], v23 offset0:2 offset1:3
	v_or_b32_e32 v26, v32, v26
	s_delay_alu instid0(VALU_DEP_1) | instskip(NEXT) | instid1(VALU_DEP_1)
	v_lshlrev_b64_e32 v[30:31], 2, v[26:27]
	v_and_or_b32 v29, v24, 2, v30
	ds_load_2addr_b64 v[24:27], v23 offset1:1
	s_wait_dscnt 0x1
	v_lshrrev_b64 v[8:9], v2, v[8:9]
	v_lshrrev_b64 v[6:7], v2, v[6:7]
	s_delay_alu instid0(VALU_DEP_1) | instskip(SKIP_4) | instid1(VALU_DEP_3)
	v_dual_lshlrev_b32 v7, 1, v8 :: v_dual_bitop2_b32 v6, 1, v6 bitop3:0x40
	s_wait_dscnt 0x0
	v_lshrrev_b64 v[8:9], v2, v[26:27]
	v_or_b32_e32 v30, v28, v29
	v_lshrrev_b64 v[24:25], v2, v[24:25]
	v_lshlrev_b32_e32 v8, 1, v8
	s_delay_alu instid0(VALU_DEP_3) | instskip(NEXT) | instid1(VALU_DEP_3)
	v_lshlrev_b64_e32 v[28:29], 2, v[30:31]
	v_and_b32_e32 v9, 1, v24
	s_delay_alu instid0(VALU_DEP_2) | instskip(NEXT) | instid1(VALU_DEP_1)
	v_and_or_b32 v7, v7, 2, v28
	v_or_b32_e32 v28, v6, v7
	s_delay_alu instid0(VALU_DEP_1) | instskip(NEXT) | instid1(VALU_DEP_1)
	v_lshlrev_b64_e32 v[6:7], 2, v[28:29]
	v_and_or_b32 v6, v8, 2, v6
	s_delay_alu instid0(VALU_DEP_1)
	v_or_b32_e32 v6, v9, v6
	s_cbranch_scc0 .LBB0_8
; %bb.9:                                ;   in Loop: Header=BB0_3 Depth=1
	ds_store_b64 v1, v[6:7]
	s_wait_dscnt 0x0
	s_barrier_signal -1
	s_barrier_wait -1
	s_and_saveexec_b32 s11, vcc_lo
	s_cbranch_execz .LBB0_11
; %bb.10:                               ;   in Loop: Header=BB0_3 Depth=1
	ds_load_b64 v[8:9], v10
	s_wait_dscnt 0x0
	v_sub_nc_u64_e32 v[6:7], v[6:7], v[8:9]
.LBB0_11:                               ;   in Loop: Header=BB0_3 Depth=1
	s_or_b32 exec_lo, exec_lo, s11
	s_delay_alu instid0(VALU_DEP_1)
	v_cmp_ne_u64_e64 s11, 0, v[6:7]
	s_and_saveexec_b32 s28, s10
	s_cbranch_execz .LBB0_13
; %bb.12:                               ;   in Loop: Header=BB0_3 Depth=1
	v_ashrrev_i32_e32 v8, 31, v4
	s_delay_alu instid0(VALU_DEP_1) | instskip(NEXT) | instid1(VALU_DEP_1)
	v_lshrrev_b32_e32 v8, 26, v8
	v_dual_add_nc_u32 v8, v4, v8 :: v_dual_mov_b32 v4, s11
	s_delay_alu instid0(VALU_DEP_1)
	v_ashrrev_i32_e32 v8, 6, v8
	global_store_b64 v8, v[4:5], s[14:15] offset:8 scale_offset
.LBB0_13:                               ;   in Loop: Header=BB0_3 Depth=1
	s_wait_xcnt 0x0
	s_or_b32 exec_lo, exec_lo, s28
	v_cndmask_b32_e64 v4, 0, 1, s11
	ds_bpermute_b32 v8, v12, v4
	s_wait_dscnt 0x0
	v_cndmask_b32_e64 v8, v8, 0, s0
	s_delay_alu instid0(VALU_DEP_1) | instskip(SKIP_3) | instid1(VALU_DEP_1)
	v_add_nc_u32_e32 v8, v8, v4
	ds_bpermute_b32 v9, v13, v8
	s_wait_dscnt 0x0
	v_cndmask_b32_e64 v9, 0, v9, s1
	v_add_nc_u32_e32 v8, v8, v9
	ds_bpermute_b32 v9, v14, v8
	s_wait_dscnt 0x0
	v_cndmask_b32_e64 v9, 0, v9, s2
	s_delay_alu instid0(VALU_DEP_1) | instskip(SKIP_3) | instid1(VALU_DEP_1)
	v_add_nc_u32_e32 v8, v8, v9
	ds_bpermute_b32 v9, v15, v8
	s_wait_dscnt 0x0
	v_cndmask_b32_e64 v9, 0, v9, s3
	v_add_nc_u32_e32 v8, v8, v9
	ds_bpermute_b32 v9, v16, v8
	s_wait_dscnt 0x0
	v_cndmask_b32_e64 v9, 0, v9, s4
	s_delay_alu instid0(VALU_DEP_1) | instskip(SKIP_3) | instid1(VALU_DEP_1)
	v_add_nc_u32_e32 v8, v8, v9
	ds_bpermute_b32 v9, v17, v8
	s_wait_dscnt 0x0
	v_cndmask_b32_e64 v9, 0, v9, s5
	v_add_nc_u32_e32 v8, v8, v9
	s_and_saveexec_b32 s10, s6
; %bb.14:                               ;   in Loop: Header=BB0_3 Depth=1
	ds_store_b32 v18, v8
; %bb.15:                               ;   in Loop: Header=BB0_3 Depth=1
	s_or_b32 exec_lo, exec_lo, s10
	s_wait_storecnt_dscnt 0x0
	s_barrier_signal -1
	s_barrier_wait -1
	s_and_saveexec_b32 s10, s7
	s_cbranch_execz .LBB0_17
; %bb.16:                               ;   in Loop: Header=BB0_3 Depth=1
	ds_load_b32 v9, v19
	s_wait_dscnt 0x0
	ds_bpermute_b32 v23, v12, v9
	s_wait_dscnt 0x0
	v_cndmask_b32_e64 v23, v23, 0, s0
	s_delay_alu instid0(VALU_DEP_1) | instskip(SKIP_3) | instid1(VALU_DEP_1)
	v_add_nc_u32_e32 v9, v23, v9
	ds_bpermute_b32 v23, v13, v9
	s_wait_dscnt 0x0
	v_cndmask_b32_e64 v23, 0, v23, s1
	v_add_nc_u32_e32 v9, v23, v9
	ds_bpermute_b32 v23, v14, v9
	s_wait_dscnt 0x0
	v_cndmask_b32_e64 v23, 0, v23, s2
	s_delay_alu instid0(VALU_DEP_1) | instskip(SKIP_3) | instid1(VALU_DEP_1)
	v_add_nc_u32_e32 v9, v23, v9
	ds_bpermute_b32 v23, v15, v9
	s_wait_dscnt 0x0
	v_cndmask_b32_e64 v23, 0, v23, s3
	v_add_nc_u32_e32 v9, v23, v9
	;; [unrolled: 9-line block ×3, first 2 shown]
	ds_store_b32 v19, v9
.LBB0_17:                               ;   in Loop: Header=BB0_3 Depth=1
	s_or_b32 exec_lo, exec_lo, s10
	v_cndmask_b32_e64 v8, v8, v4, s0
	s_wait_dscnt 0x0
	s_barrier_signal -1
	s_barrier_wait -1
	s_and_saveexec_b32 s10, s8
	s_cbranch_execnz .LBB0_20
; %bb.18:                               ;   in Loop: Header=BB0_3 Depth=1
	s_or_b32 exec_lo, exec_lo, s10
	s_and_saveexec_b32 s10, s11
	s_cbranch_execnz .LBB0_21
.LBB0_19:                               ;   in Loop: Header=BB0_3 Depth=1
	s_or_b32 exec_lo, exec_lo, s10
	s_and_saveexec_b32 s11, s9
	s_cbranch_execnz .LBB0_22
	s_branch .LBB0_29
.LBB0_20:                               ;   in Loop: Header=BB0_3 Depth=1
	ds_load_b32 v4, v20
	s_wait_dscnt 0x0
	v_add_nc_u32_e32 v8, v4, v8
	s_or_b32 exec_lo, exec_lo, s10
	s_and_saveexec_b32 s10, s11
	s_cbranch_execz .LBB0_19
.LBB0_21:                               ;   in Loop: Header=BB0_3 Depth=1
	s_delay_alu instid0(VALU_DEP_1)
	v_lshlrev_b32_e32 v4, 3, v8
	ds_store_b64 v4, v[6:7] offset:8184
	s_or_b32 exec_lo, exec_lo, s10
	s_and_saveexec_b32 s11, s9
	s_cbranch_execz .LBB0_29
.LBB0_22:                               ;   in Loop: Header=BB0_3 Depth=1
	v_mov_b32_e32 v9, s26
	s_cmp_lt_i32 s20, 1
	s_cbranch_scc1 .LBB0_26
; %bb.23:                               ;   in Loop: Header=BB0_3 Depth=1
	s_mov_b32 s28, 0
.LBB0_24:                               ;   Parent Loop BB0_3 Depth=1
                                        ; =>  This Inner Loop Header: Depth=2
	flat_load_b32 v9, v5, s[18:19] scope:SCOPE_SYS
	s_wait_loadcnt_dscnt 0x0
	v_cmp_lt_i32_e64 s10, -1, v9
	s_or_b32 s28, s10, s28
	s_delay_alu instid0(SALU_CYCLE_1)
	s_and_not1_b32 exec_lo, exec_lo, s28
	s_cbranch_execnz .LBB0_24
; %bb.25:                               ;   in Loop: Header=BB0_3 Depth=1
	s_or_b32 exec_lo, exec_lo, s28
.LBB0_26:                               ;   in Loop: Header=BB0_3 Depth=1
	s_delay_alu instid0(VALU_DEP_1)
	v_add_nc_u32_e32 v7, v9, v8
	s_cmp_lg_u32 s20, s25
	flat_store_b32 v5, v7, s[16:17] scope:SCOPE_SYS
	s_wait_storecnt 0x0
	flat_store_b32 v5, v22, s[18:19] scope:SCOPE_SYS
	s_wait_storecnt 0x0
	s_cbranch_scc1 .LBB0_28
; %bb.27:                               ;   in Loop: Header=BB0_3 Depth=1
	v_mov_b32_e32 v6, s21
	global_store_b64 v5, v[6:7], s[14:15]
.LBB0_28:                               ;   in Loop: Header=BB0_3 Depth=1
	ds_store_b64 v5, v[8:9] offset:16384
.LBB0_29:                               ;   in Loop: Header=BB0_3 Depth=1
	s_wait_xcnt 0x0
	s_or_b32 exec_lo, exec_lo, s11
	s_wait_storecnt_dscnt 0x0
	s_barrier_signal -1
	s_barrier_wait -1
	ds_load_b32 v4, v5 offset:16384
	s_mov_b32 s11, exec_lo
	s_wait_dscnt 0x0
	v_cmpx_lt_i32_e64 v0, v4
	s_cbranch_execz .LBB0_2
; %bb.30:                               ;   in Loop: Header=BB0_3 Depth=1
	ds_load_b32 v4, v5 offset:16388
	ds_load_b64 v[6:7], v3
	s_wait_dscnt 0x1
	v_add_nc_u32_e32 v4, v4, v0
	s_wait_dscnt 0x0
	global_store_b64 v4, v[6:7], s[14:15] scale_offset
	s_branch .LBB0_2
.LBB0_31:
	s_endpgm
	.section	.rodata,"a",@progbits
	.p2align	6, 0x0
	.amdhsa_kernel _ZL11MPCcompressILi64EEviPlS0_PVih
		.amdhsa_group_segment_fixed_size 16392
		.amdhsa_private_segment_fixed_size 0
		.amdhsa_kernarg_size 296
		.amdhsa_user_sgpr_count 2
		.amdhsa_user_sgpr_dispatch_ptr 0
		.amdhsa_user_sgpr_queue_ptr 0
		.amdhsa_user_sgpr_kernarg_segment_ptr 1
		.amdhsa_user_sgpr_dispatch_id 0
		.amdhsa_user_sgpr_kernarg_preload_length 0
		.amdhsa_user_sgpr_kernarg_preload_offset 0
		.amdhsa_user_sgpr_private_segment_size 0
		.amdhsa_wavefront_size32 1
		.amdhsa_uses_dynamic_stack 0
		.amdhsa_enable_private_segment 0
		.amdhsa_system_sgpr_workgroup_id_x 1
		.amdhsa_system_sgpr_workgroup_id_y 0
		.amdhsa_system_sgpr_workgroup_id_z 0
		.amdhsa_system_sgpr_workgroup_info 0
		.amdhsa_system_vgpr_workitem_id 0
		.amdhsa_next_free_vgpr 33
		.amdhsa_next_free_sgpr 29
		.amdhsa_named_barrier_count 0
		.amdhsa_reserve_vcc 1
		.amdhsa_float_round_mode_32 0
		.amdhsa_float_round_mode_16_64 0
		.amdhsa_float_denorm_mode_32 3
		.amdhsa_float_denorm_mode_16_64 3
		.amdhsa_fp16_overflow 0
		.amdhsa_memory_ordered 1
		.amdhsa_forward_progress 1
		.amdhsa_inst_pref_size 15
		.amdhsa_round_robin_scheduling 0
		.amdhsa_exception_fp_ieee_invalid_op 0
		.amdhsa_exception_fp_denorm_src 0
		.amdhsa_exception_fp_ieee_div_zero 0
		.amdhsa_exception_fp_ieee_overflow 0
		.amdhsa_exception_fp_ieee_underflow 0
		.amdhsa_exception_fp_ieee_inexact 0
		.amdhsa_exception_int_div_zero 0
	.end_amdhsa_kernel
	.section	.text._ZL11MPCcompressILi64EEviPlS0_PVih,"axG",@progbits,_ZL11MPCcompressILi64EEviPlS0_PVih,comdat
.Lfunc_end0:
	.size	_ZL11MPCcompressILi64EEviPlS0_PVih, .Lfunc_end0-_ZL11MPCcompressILi64EEviPlS0_PVih
                                        ; -- End function
	.set _ZL11MPCcompressILi64EEviPlS0_PVih.num_vgpr, 33
	.set _ZL11MPCcompressILi64EEviPlS0_PVih.num_agpr, 0
	.set _ZL11MPCcompressILi64EEviPlS0_PVih.numbered_sgpr, 29
	.set _ZL11MPCcompressILi64EEviPlS0_PVih.num_named_barrier, 0
	.set _ZL11MPCcompressILi64EEviPlS0_PVih.private_seg_size, 0
	.set _ZL11MPCcompressILi64EEviPlS0_PVih.uses_vcc, 1
	.set _ZL11MPCcompressILi64EEviPlS0_PVih.uses_flat_scratch, 0
	.set _ZL11MPCcompressILi64EEviPlS0_PVih.has_dyn_sized_stack, 0
	.set _ZL11MPCcompressILi64EEviPlS0_PVih.has_recursion, 0
	.set _ZL11MPCcompressILi64EEviPlS0_PVih.has_indirect_call, 0
	.section	.AMDGPU.csdata,"",@progbits
; Kernel info:
; codeLenInByte = 1844
; TotalNumSgprs: 31
; NumVgprs: 33
; ScratchSize: 0
; MemoryBound: 0
; FloatMode: 240
; IeeeMode: 1
; LDSByteSize: 16392 bytes/workgroup (compile time only)
; SGPRBlocks: 0
; VGPRBlocks: 2
; NumSGPRsForWavesPerEU: 31
; NumVGPRsForWavesPerEU: 33
; NamedBarCnt: 0
; Occupancy: 16
; WaveLimiterHint : 0
; COMPUTE_PGM_RSRC2:SCRATCH_EN: 0
; COMPUTE_PGM_RSRC2:USER_SGPR: 2
; COMPUTE_PGM_RSRC2:TRAP_HANDLER: 0
; COMPUTE_PGM_RSRC2:TGID_X_EN: 1
; COMPUTE_PGM_RSRC2:TGID_Y_EN: 0
; COMPUTE_PGM_RSRC2:TGID_Z_EN: 0
; COMPUTE_PGM_RSRC2:TIDIG_COMP_CNT: 0
	.section	.text._ZL11MPCcompressILi32EEviPlS0_PVih,"axG",@progbits,_ZL11MPCcompressILi32EEviPlS0_PVih,comdat
	.globl	_ZL11MPCcompressILi32EEviPlS0_PVih ; -- Begin function _ZL11MPCcompressILi32EEviPlS0_PVih
	.p2align	8
	.type	_ZL11MPCcompressILi32EEviPlS0_PVih,@function
_ZL11MPCcompressILi32EEviPlS0_PVih:     ; @_ZL11MPCcompressILi32EEviPlS0_PVih
; %bb.0:
	s_load_b32 s26, s[0:1], 0x0
	s_bfe_u32 s2, ttmp6, 0x4000c
	s_and_b32 s3, ttmp6, 15
	s_add_co_i32 s2, s2, 1
	s_getreg_b32 s4, hwreg(HW_REG_IB_STS2, 6, 4)
	s_mul_i32 s2, ttmp9, s2
	s_mov_b32 s15, 0
	s_add_co_i32 s3, s3, s2
	s_cmp_eq_u32 s4, 0
	s_cselect_b32 s20, ttmp9, s3
	s_wait_kmcnt 0x0
	s_add_co_i32 s2, s26, 0x3ff
	s_delay_alu instid0(SALU_CYCLE_1) | instskip(NEXT) | instid1(SALU_CYCLE_1)
	s_ashr_i32 s3, s2, 31
	s_lshr_b32 s3, s3, 22
	s_delay_alu instid0(SALU_CYCLE_1) | instskip(NEXT) | instid1(SALU_CYCLE_1)
	s_add_co_i32 s2, s2, s3
	s_ashr_i32 s27, s2, 10
	s_delay_alu instid0(SALU_CYCLE_1)
	s_cmp_ge_i32 s20, s27
	s_cbranch_scc1 .LBB1_33
; %bb.1:
	s_clause 0x2
	s_load_b32 s28, s[0:1], 0x28
	s_load_b128 s[16:19], s[0:1], 0x8
	s_load_b96 s[12:14], s[0:1], 0x18
	s_wait_xcnt 0x0
	s_add_co_i32 s0, s26, 63
	v_mbcnt_lo_u32_b32 v4, -1, 0
	s_ashr_i32 s2, s0, 31
	s_add_co_i32 s1, s20, 1
	s_lshr_b32 s2, s2, 26
	s_add_co_i32 s29, s27, -1
	v_dual_add_nc_u32 v5, -1, v4 :: v_dual_add_nc_u32 v7, -2, v4
	s_add_co_i32 s0, s0, s2
	v_dual_lshlrev_b32 v1, 3, v0 :: v_dual_bitop2_b32 v2, 63, v0 bitop3:0x40
	s_ashr_i32 s30, s0, 6
	s_delay_alu instid0(VALU_DEP_2)
	v_cmp_gt_i32_e64 s2, 0, v5
	s_add_co_i32 s30, s30, 1
	v_dual_mov_b32 v3, 0 :: v_dual_add_nc_u32 v9, -8, v1
	v_or_b32_e32 v8, 0x2000, v1
	s_wait_kmcnt 0x0
	s_cmp_lg_u32 s1, s28
	v_cmp_eq_u32_e64 s0, 32, v2
	s_cselect_b32 s22, s1, 0
	s_and_b32 s11, s14, 0xff
	s_movk_i32 s14, 0x1e00
	v_sub_co_u32 v6, s31, v0, s11
	v_cndmask_b32_e64 v5, v5, v4, s2
	v_cmp_gt_i32_e64 s2, 0, v7
	s_delay_alu instid0(VALU_DEP_3) | instskip(NEXT) | instid1(VALU_DEP_3)
	v_dual_add_nc_u32 v12, -4, v4 :: v_dual_lshlrev_b32 v10, 3, v6
	v_dual_lshlrev_b32 v11, 2, v5 :: v_dual_bitop2_b32 v6, 31, v0 bitop3:0x40
	s_delay_alu instid0(VALU_DEP_3) | instskip(NEXT) | instid1(VALU_DEP_3)
	v_cndmask_b32_e64 v5, v7, v4, s2
	v_cmp_gt_i32_e64 s3, 0, v12
	v_add_nc_u32_e32 v14, -8, v4
	s_ashr_i32 s21, s20, 31
	s_ashr_i32 s23, s22, 31
	v_cmp_ne_u32_e64 s1, 0, v2
	v_dual_cndmask_b32 v7, v12, v4, s3 :: v_dual_lshlrev_b32 v12, 2, v5
	v_add_nc_u32_e32 v5, -16, v4
	v_cmp_gt_i32_e64 s4, 0, v14
	v_cmp_eq_u32_e64 s2, 0, v6
	s_delay_alu instid0(VALU_DEP_4)
	v_lshlrev_b32_e32 v13, 2, v7
	v_cmp_lt_u32_e64 s3, 1, v6
	v_cmp_lt_u32_e64 s5, 7, v6
	v_cndmask_b32_e64 v7, v14, v4, s4
	v_cmp_gt_i32_e64 s4, 0, v5
	v_lshlrev_b32_e32 v17, 2, v6
	v_cmp_lt_u32_e64 s6, 15, v6
	v_cmp_eq_u32_e64 s7, 31, v6
	s_delay_alu instid0(VALU_DEP_4)
	v_dual_lshlrev_b32 v14, 2, v7 :: v_dual_cndmask_b32 v4, v5, v4, s4
	v_lshrrev_b32_e32 v5, 3, v0
	v_cmp_lt_u32_e64 s4, 3, v6
	v_cmp_gt_u32_e64 s8, 32, v0
	v_cmp_lt_u32_e64 s9, 31, v0
	v_dual_mov_b32 v20, -1 :: v_dual_lshlrev_b32 v15, 2, v4
	v_and_b32_e32 v16, 0x7c, v5
	v_cmp_eq_u32_e64 s10, 0x3ff, v0
	v_and_or_b32 v19, v1, s14, 0x21c0
	s_lshl_b64 s[24:25], s[20:21], 2
	s_lshl_b64 s[34:35], s[22:23], 2
	v_add_nc_u32_e32 v18, -4, v16
	s_add_nc_u64 s[22:23], s[12:13], s[24:25]
	s_add_nc_u64 s[24:25], s[12:13], s[34:35]
	s_add_co_i32 s13, s11, 0x43504cff
	v_cmp_ne_u32_e32 vcc_lo, 0, v0
	s_branch .LBB1_3
.LBB1_2:                                ;   in Loop: Header=BB1_3 Depth=1
	s_wait_xcnt 0x0
	s_or_b32 exec_lo, exec_lo, s12
	s_add_co_i32 s20, s20, s28
	s_delay_alu instid0(SALU_CYCLE_1)
	s_cmp_ge_i32 s20, s27
	s_cbranch_scc1 .LBB1_33
.LBB1_3:                                ; =>This Loop Header: Depth=1
                                        ;     Child Loop BB1_8 Depth 2
                                        ;     Child Loop BB1_26 Depth 2
	v_lshl_or_b32 v21, s20, 10, v0
	v_mov_b64_e32 v[6:7], 0
	s_mov_b32 s14, exec_lo
	s_delay_alu instid0(VALU_DEP_2)
	v_cmp_le_i32_e64 s11, s26, v21
	v_cmpx_gt_i32_e64 s26, v21
	s_cbranch_execz .LBB1_5
; %bb.4:                                ;   in Loop: Header=BB1_3 Depth=1
	global_load_b64 v[6:7], v21, s[16:17] scale_offset
	s_wait_loadcnt 0x0
	ds_store_b64 v1, v[6:7]
.LBB1_5:                                ;   in Loop: Header=BB1_3 Depth=1
	s_wait_xcnt 0x0
	s_or_b32 exec_lo, exec_lo, s14
	s_nor_b32 s14, s31, s11
	s_wait_dscnt 0x0
	s_barrier_signal -1
	s_barrier_wait -1
	s_and_saveexec_b32 s12, s14
	s_cbranch_execz .LBB1_7
; %bb.6:                                ;   in Loop: Header=BB1_3 Depth=1
	ds_load_b64 v[4:5], v10
	s_wait_dscnt 0x0
	v_sub_nc_u64_e32 v[6:7], v[6:7], v[4:5]
.LBB1_7:                                ;   in Loop: Header=BB1_3 Depth=1
	s_or_b32 exec_lo, exec_lo, s12
	v_mov_b64_e32 v[4:5], 0
	s_mov_b32 s12, 0
	ds_store_b64 v8, v[6:7]
	s_wait_dscnt 0x0
	s_barrier_signal -1
	s_barrier_wait -1
.LBB1_8:                                ;   Parent Loop BB1_3 Depth=1
                                        ; =>  This Inner Loop Header: Depth=2
	v_add_nc_u32_e32 v30, s12, v19
	s_sub_co_i32 s12, s12, 64
	ds_load_2addr_b64 v[22:25], v30 offset0:6 offset1:7
	ds_load_2addr_b64 v[26:29], v30 offset0:4 offset1:5
	s_cmp_eq_u32 s12, 0xfffffe00
	s_wait_dscnt 0x1
	v_lshrrev_b64 v[6:7], v2, v[24:25]
	v_lshlrev_b64_e32 v[24:25], 2, v[4:5]
	v_lshrrev_b64 v[4:5], v2, v[22:23]
	s_wait_dscnt 0x0
	v_lshrrev_b64 v[22:23], v2, v[28:29]
	v_lshrrev_b64 v[26:27], v2, v[26:27]
	s_delay_alu instid0(VALU_DEP_3) | instskip(NEXT) | instid1(VALU_DEP_3)
	v_dual_lshlrev_b32 v5, 1, v6 :: v_dual_bitop2_b32 v31, 1, v4 bitop3:0x40
	v_lshlrev_b32_e32 v22, 1, v22
	s_delay_alu instid0(VALU_DEP_3) | instskip(NEXT) | instid1(VALU_DEP_3)
	v_and_b32_e32 v26, 1, v26
	v_and_or_b32 v24, v5, 2, v24
	ds_load_2addr_b64 v[4:7], v30 offset0:2 offset1:3
	v_or_b32_e32 v24, v31, v24
	s_delay_alu instid0(VALU_DEP_1) | instskip(NEXT) | instid1(VALU_DEP_1)
	v_lshlrev_b64_e32 v[28:29], 2, v[24:25]
	v_and_or_b32 v27, v22, 2, v28
	ds_load_2addr_b64 v[22:25], v30 offset1:1
	s_wait_dscnt 0x1
	v_lshrrev_b64 v[6:7], v2, v[6:7]
	v_lshrrev_b64 v[4:5], v2, v[4:5]
	s_delay_alu instid0(VALU_DEP_1) | instskip(SKIP_4) | instid1(VALU_DEP_3)
	v_dual_lshlrev_b32 v5, 1, v6 :: v_dual_bitop2_b32 v4, 1, v4 bitop3:0x40
	s_wait_dscnt 0x0
	v_lshrrev_b64 v[6:7], v2, v[24:25]
	v_or_b32_e32 v28, v26, v27
	v_lshrrev_b64 v[22:23], v2, v[22:23]
	v_lshlrev_b32_e32 v6, 1, v6
	s_delay_alu instid0(VALU_DEP_3) | instskip(NEXT) | instid1(VALU_DEP_3)
	v_lshlrev_b64_e32 v[26:27], 2, v[28:29]
	v_and_b32_e32 v7, 1, v22
	s_delay_alu instid0(VALU_DEP_2) | instskip(NEXT) | instid1(VALU_DEP_1)
	v_and_or_b32 v5, v5, 2, v26
	v_or_b32_e32 v26, v4, v5
	s_delay_alu instid0(VALU_DEP_1) | instskip(NEXT) | instid1(VALU_DEP_1)
	v_lshlrev_b64_e32 v[4:5], 2, v[26:27]
	v_and_or_b32 v4, v6, 2, v4
	s_delay_alu instid0(VALU_DEP_1)
	v_or_b32_e32 v4, v7, v4
	s_cbranch_scc0 .LBB1_8
; %bb.9:                                ;   in Loop: Header=BB1_3 Depth=1
	ds_store_b64 v1, v[4:5]
	s_wait_dscnt 0x0
	s_barrier_signal -1
	s_barrier_wait -1
	s_and_saveexec_b32 s12, vcc_lo
	s_cbranch_execz .LBB1_11
; %bb.10:                               ;   in Loop: Header=BB1_3 Depth=1
	ds_load_b64 v[6:7], v9
	s_wait_dscnt 0x0
	v_sub_nc_u64_e32 v[4:5], v[4:5], v[6:7]
.LBB1_11:                               ;   in Loop: Header=BB1_3 Depth=1
	s_or_b32 exec_lo, exec_lo, s12
	s_delay_alu instid0(VALU_DEP_1)
	v_cmp_ne_u64_e64 s14, 0, v[4:5]
	s_and_saveexec_b32 s12, s0
; %bb.12:                               ;   in Loop: Header=BB1_3 Depth=1
	v_mov_b64_e32 v[6:7], s[14:15]
	ds_store_b64 v8, v[6:7]
; %bb.13:                               ;   in Loop: Header=BB1_3 Depth=1
	s_or_b32 exec_lo, exec_lo, s12
	s_nor_b32 s12, s1, s11
	s_wait_dscnt 0x0
	s_barrier_signal -1
	s_barrier_wait -1
	s_and_saveexec_b32 s11, s12
	s_cbranch_execz .LBB1_15
; %bb.14:                               ;   in Loop: Header=BB1_3 Depth=1
	ds_load_b32 v7, v8 offset:256
	v_dual_mov_b32 v6, s14 :: v_dual_ashrrev_i32 v21, 6, v21
	s_wait_dscnt 0x0
	global_store_b64 v21, v[6:7], s[18:19] offset:8 scale_offset
.LBB1_15:                               ;   in Loop: Header=BB1_3 Depth=1
	s_wait_xcnt 0x0
	s_or_b32 exec_lo, exec_lo, s11
	v_cndmask_b32_e64 v6, 0, 1, s14
	ds_bpermute_b32 v7, v11, v6
	s_wait_dscnt 0x0
	v_cndmask_b32_e64 v7, v7, 0, s2
	s_delay_alu instid0(VALU_DEP_1) | instskip(SKIP_3) | instid1(VALU_DEP_1)
	v_add_nc_u32_e32 v7, v7, v6
	ds_bpermute_b32 v21, v12, v7
	s_wait_dscnt 0x0
	v_cndmask_b32_e64 v21, 0, v21, s3
	v_add_nc_u32_e32 v7, v7, v21
	ds_bpermute_b32 v21, v13, v7
	s_wait_dscnt 0x0
	v_cndmask_b32_e64 v21, 0, v21, s4
	s_delay_alu instid0(VALU_DEP_1) | instskip(SKIP_3) | instid1(VALU_DEP_1)
	v_add_nc_u32_e32 v7, v7, v21
	ds_bpermute_b32 v21, v14, v7
	s_wait_dscnt 0x0
	v_cndmask_b32_e64 v21, 0, v21, s5
	v_add_nc_u32_e32 v7, v7, v21
	ds_bpermute_b32 v21, v15, v7
	s_wait_dscnt 0x0
	v_cndmask_b32_e64 v21, 0, v21, s6
	s_delay_alu instid0(VALU_DEP_1)
	v_add_nc_u32_e32 v7, v7, v21
	s_and_saveexec_b32 s11, s7
; %bb.16:                               ;   in Loop: Header=BB1_3 Depth=1
	ds_store_b32 v16, v7
; %bb.17:                               ;   in Loop: Header=BB1_3 Depth=1
	s_or_b32 exec_lo, exec_lo, s11
	s_wait_storecnt_dscnt 0x0
	s_barrier_signal -1
	s_barrier_wait -1
	s_and_saveexec_b32 s11, s8
	s_cbranch_execz .LBB1_19
; %bb.18:                               ;   in Loop: Header=BB1_3 Depth=1
	ds_load_b32 v21, v17
	s_wait_dscnt 0x0
	ds_bpermute_b32 v22, v11, v21
	s_wait_dscnt 0x0
	v_cndmask_b32_e64 v22, v22, 0, s2
	s_delay_alu instid0(VALU_DEP_1) | instskip(SKIP_3) | instid1(VALU_DEP_1)
	v_add_nc_u32_e32 v21, v22, v21
	ds_bpermute_b32 v22, v12, v21
	s_wait_dscnt 0x0
	v_cndmask_b32_e64 v22, 0, v22, s3
	v_add_nc_u32_e32 v21, v22, v21
	ds_bpermute_b32 v22, v13, v21
	s_wait_dscnt 0x0
	v_cndmask_b32_e64 v22, 0, v22, s4
	s_delay_alu instid0(VALU_DEP_1) | instskip(SKIP_3) | instid1(VALU_DEP_1)
	v_add_nc_u32_e32 v21, v22, v21
	ds_bpermute_b32 v22, v14, v21
	s_wait_dscnt 0x0
	v_cndmask_b32_e64 v22, 0, v22, s5
	v_add_nc_u32_e32 v21, v22, v21
	ds_bpermute_b32 v22, v15, v21
	s_wait_dscnt 0x0
	v_cndmask_b32_e64 v22, 0, v22, s6
	s_delay_alu instid0(VALU_DEP_1)
	v_add_nc_u32_e32 v21, v22, v21
	ds_store_b32 v17, v21
.LBB1_19:                               ;   in Loop: Header=BB1_3 Depth=1
	s_or_b32 exec_lo, exec_lo, s11
	v_cndmask_b32_e64 v6, v7, v6, s2
	s_wait_dscnt 0x0
	s_barrier_signal -1
	s_barrier_wait -1
	s_and_saveexec_b32 s11, s9
	s_cbranch_execnz .LBB1_22
; %bb.20:                               ;   in Loop: Header=BB1_3 Depth=1
	s_or_b32 exec_lo, exec_lo, s11
	s_and_saveexec_b32 s11, s14
	s_cbranch_execnz .LBB1_23
.LBB1_21:                               ;   in Loop: Header=BB1_3 Depth=1
	s_or_b32 exec_lo, exec_lo, s11
	s_and_saveexec_b32 s12, s10
	s_cbranch_execnz .LBB1_24
	s_branch .LBB1_31
.LBB1_22:                               ;   in Loop: Header=BB1_3 Depth=1
	ds_load_b32 v7, v18
	s_wait_dscnt 0x0
	v_add_nc_u32_e32 v6, v7, v6
	s_or_b32 exec_lo, exec_lo, s11
	s_and_saveexec_b32 s11, s14
	s_cbranch_execz .LBB1_21
.LBB1_23:                               ;   in Loop: Header=BB1_3 Depth=1
	s_delay_alu instid0(VALU_DEP_1)
	v_lshlrev_b32_e32 v7, 3, v6
	ds_store_b64 v7, v[4:5] offset:8184
	s_or_b32 exec_lo, exec_lo, s11
	s_and_saveexec_b32 s12, s10
	s_cbranch_execz .LBB1_31
.LBB1_24:                               ;   in Loop: Header=BB1_3 Depth=1
	v_mov_b32_e32 v7, s30
	s_cmp_lt_i32 s20, 1
	s_cbranch_scc1 .LBB1_28
; %bb.25:                               ;   in Loop: Header=BB1_3 Depth=1
	s_mov_b32 s14, 0
.LBB1_26:                               ;   Parent Loop BB1_3 Depth=1
                                        ; =>  This Inner Loop Header: Depth=2
	flat_load_b32 v7, v3, s[22:23] scope:SCOPE_SYS
	s_wait_loadcnt_dscnt 0x0
	v_cmp_lt_i32_e64 s11, -1, v7
	s_or_b32 s14, s11, s14
	s_delay_alu instid0(SALU_CYCLE_1)
	s_and_not1_b32 exec_lo, exec_lo, s14
	s_cbranch_execnz .LBB1_26
; %bb.27:                               ;   in Loop: Header=BB1_3 Depth=1
	s_or_b32 exec_lo, exec_lo, s14
.LBB1_28:                               ;   in Loop: Header=BB1_3 Depth=1
	s_delay_alu instid0(VALU_DEP_1)
	v_add_nc_u32_e32 v5, v7, v6
	s_cmp_lg_u32 s20, s29
	flat_store_b32 v3, v5, s[24:25] scope:SCOPE_SYS
	s_wait_storecnt 0x0
	flat_store_b32 v3, v20, s[22:23] scope:SCOPE_SYS
	s_wait_storecnt 0x0
	s_cbranch_scc1 .LBB1_30
; %bb.29:                               ;   in Loop: Header=BB1_3 Depth=1
	v_mov_b32_e32 v4, s13
	global_store_b64 v3, v[4:5], s[18:19]
.LBB1_30:                               ;   in Loop: Header=BB1_3 Depth=1
	ds_store_b64 v3, v[6:7] offset:16384
.LBB1_31:                               ;   in Loop: Header=BB1_3 Depth=1
	s_wait_xcnt 0x0
	s_or_b32 exec_lo, exec_lo, s12
	s_wait_storecnt_dscnt 0x0
	s_barrier_signal -1
	s_barrier_wait -1
	ds_load_b32 v4, v3 offset:16384
	s_mov_b32 s12, exec_lo
	s_wait_dscnt 0x0
	v_cmpx_lt_i32_e64 v0, v4
	s_cbranch_execz .LBB1_2
; %bb.32:                               ;   in Loop: Header=BB1_3 Depth=1
	ds_load_b32 v6, v3 offset:16388
	ds_load_b64 v[4:5], v8
	s_wait_dscnt 0x1
	v_add_nc_u32_e32 v6, v6, v0
	s_wait_dscnt 0x0
	global_store_b64 v6, v[4:5], s[18:19] scale_offset
	s_branch .LBB1_2
.LBB1_33:
	s_endpgm
	.section	.rodata,"a",@progbits
	.p2align	6, 0x0
	.amdhsa_kernel _ZL11MPCcompressILi32EEviPlS0_PVih
		.amdhsa_group_segment_fixed_size 16392
		.amdhsa_private_segment_fixed_size 0
		.amdhsa_kernarg_size 296
		.amdhsa_user_sgpr_count 2
		.amdhsa_user_sgpr_dispatch_ptr 0
		.amdhsa_user_sgpr_queue_ptr 0
		.amdhsa_user_sgpr_kernarg_segment_ptr 1
		.amdhsa_user_sgpr_dispatch_id 0
		.amdhsa_user_sgpr_kernarg_preload_length 0
		.amdhsa_user_sgpr_kernarg_preload_offset 0
		.amdhsa_user_sgpr_private_segment_size 0
		.amdhsa_wavefront_size32 1
		.amdhsa_uses_dynamic_stack 0
		.amdhsa_enable_private_segment 0
		.amdhsa_system_sgpr_workgroup_id_x 1
		.amdhsa_system_sgpr_workgroup_id_y 0
		.amdhsa_system_sgpr_workgroup_id_z 0
		.amdhsa_system_sgpr_workgroup_info 0
		.amdhsa_system_vgpr_workitem_id 0
		.amdhsa_next_free_vgpr 32
		.amdhsa_next_free_sgpr 36
		.amdhsa_named_barrier_count 0
		.amdhsa_reserve_vcc 1
		.amdhsa_float_round_mode_32 0
		.amdhsa_float_round_mode_16_64 0
		.amdhsa_float_denorm_mode_32 3
		.amdhsa_float_denorm_mode_16_64 3
		.amdhsa_fp16_overflow 0
		.amdhsa_memory_ordered 1
		.amdhsa_forward_progress 1
		.amdhsa_inst_pref_size 15
		.amdhsa_round_robin_scheduling 0
		.amdhsa_exception_fp_ieee_invalid_op 0
		.amdhsa_exception_fp_denorm_src 0
		.amdhsa_exception_fp_ieee_div_zero 0
		.amdhsa_exception_fp_ieee_overflow 0
		.amdhsa_exception_fp_ieee_underflow 0
		.amdhsa_exception_fp_ieee_inexact 0
		.amdhsa_exception_int_div_zero 0
	.end_amdhsa_kernel
	.section	.text._ZL11MPCcompressILi32EEviPlS0_PVih,"axG",@progbits,_ZL11MPCcompressILi32EEviPlS0_PVih,comdat
.Lfunc_end1:
	.size	_ZL11MPCcompressILi32EEviPlS0_PVih, .Lfunc_end1-_ZL11MPCcompressILi32EEviPlS0_PVih
                                        ; -- End function
	.set _ZL11MPCcompressILi32EEviPlS0_PVih.num_vgpr, 32
	.set _ZL11MPCcompressILi32EEviPlS0_PVih.num_agpr, 0
	.set _ZL11MPCcompressILi32EEviPlS0_PVih.numbered_sgpr, 36
	.set _ZL11MPCcompressILi32EEviPlS0_PVih.num_named_barrier, 0
	.set _ZL11MPCcompressILi32EEviPlS0_PVih.private_seg_size, 0
	.set _ZL11MPCcompressILi32EEviPlS0_PVih.uses_vcc, 1
	.set _ZL11MPCcompressILi32EEviPlS0_PVih.uses_flat_scratch, 0
	.set _ZL11MPCcompressILi32EEviPlS0_PVih.has_dyn_sized_stack, 0
	.set _ZL11MPCcompressILi32EEviPlS0_PVih.has_recursion, 0
	.set _ZL11MPCcompressILi32EEviPlS0_PVih.has_indirect_call, 0
	.section	.AMDGPU.csdata,"",@progbits
; Kernel info:
; codeLenInByte = 1812
; TotalNumSgprs: 38
; NumVgprs: 32
; ScratchSize: 0
; MemoryBound: 0
; FloatMode: 240
; IeeeMode: 1
; LDSByteSize: 16392 bytes/workgroup (compile time only)
; SGPRBlocks: 0
; VGPRBlocks: 1
; NumSGPRsForWavesPerEU: 38
; NumVGPRsForWavesPerEU: 32
; NamedBarCnt: 0
; Occupancy: 16
; WaveLimiterHint : 0
; COMPUTE_PGM_RSRC2:SCRATCH_EN: 0
; COMPUTE_PGM_RSRC2:USER_SGPR: 2
; COMPUTE_PGM_RSRC2:TRAP_HANDLER: 0
; COMPUTE_PGM_RSRC2:TGID_X_EN: 1
; COMPUTE_PGM_RSRC2:TGID_Y_EN: 0
; COMPUTE_PGM_RSRC2:TGID_Z_EN: 0
; COMPUTE_PGM_RSRC2:TIDIG_COMP_CNT: 0
	.section	.text._ZL13MPCdecompressILi64EEvPlS0_PVi,"axG",@progbits,_ZL13MPCdecompressILi64EEvPlS0_PVi,comdat
	.globl	_ZL13MPCdecompressILi64EEvPlS0_PVi ; -- Begin function _ZL13MPCdecompressILi64EEvPlS0_PVi
	.p2align	8
	.type	_ZL13MPCdecompressILi64EEvPlS0_PVi,@function
_ZL13MPCdecompressILi64EEvPlS0_PVi:     ; @_ZL13MPCdecompressILi64EEvPlS0_PVi
; %bb.0:
	s_load_b64 s[14:15], s[0:1], 0x0
	s_bfe_u32 s2, ttmp6, 0x4000c
	s_and_b32 s3, ttmp6, 15
	s_add_co_i32 s2, s2, 1
	s_getreg_b32 s4, hwreg(HW_REG_IB_STS2, 6, 4)
	s_mul_i32 s2, ttmp9, s2
	s_delay_alu instid0(SALU_CYCLE_1)
	s_add_co_i32 s3, s3, s2
	s_cmp_eq_u32 s4, 0
	s_cselect_b32 s20, ttmp9, s3
	s_wait_kmcnt 0x0
	s_load_b64 s[12:13], s[14:15], 0x0
	s_wait_kmcnt 0x0
	s_add_co_i32 s2, s13, 0x3ff
	s_delay_alu instid0(SALU_CYCLE_1) | instskip(NEXT) | instid1(SALU_CYCLE_1)
	s_ashr_i32 s3, s2, 31
	s_lshr_b32 s3, s3, 22
	s_delay_alu instid0(SALU_CYCLE_1) | instskip(NEXT) | instid1(SALU_CYCLE_1)
	s_add_co_i32 s2, s2, s3
	s_ashr_i32 s24, s2, 10
	s_delay_alu instid0(SALU_CYCLE_1)
	s_cmp_ge_i32 s20, s24
	s_cbranch_scc1 .LBB2_78
; %bb.1:
	s_clause 0x1
	s_load_b32 s25, s[0:1], 0x18
	s_load_b128 s[16:19], s[0:1], 0x8
	s_wait_xcnt 0x0
	s_add_co_i32 s0, s13, 63
	s_add_co_i32 s1, s13, -1
	s_ashr_i32 s2, s0, 31
	s_add_co_i32 s3, s20, 1
	s_lshr_b32 s2, s2, 26
	s_or_b32 s26, s1, 63
	s_add_co_i32 s0, s0, s2
	v_cvt_f32_u32_e32 v8, v0
	s_ashr_i32 s27, s0, 6
	v_dual_lshrrev_b32 v6, 6, v0 :: v_dual_mov_b32 v14, -1
	s_add_co_i32 s27, s27, 1
	v_mbcnt_lo_u32_b32 v1, -1, 0
	v_dual_mov_b32 v4, 0 :: v_dual_bitop2_b32 v2, 63, v0 bitop3:0x40
	v_bitop3_b32 v5, v0, 63, v0 bitop3:0xc
	v_cmp_lt_u32_e64 s0, 63, v0
	s_delay_alu instid0(VALU_DEP_4)
	v_dual_add_nc_u32 v10, -1, v1 :: v_dual_add_nc_u32 v11, -2, v1
	s_wait_kmcnt 0x0
	s_cmp_lg_u32 s3, s25
	v_dual_add_nc_u32 v12, -4, v1 :: v_dual_add_nc_u32 v13, -8, v1
	s_cselect_b32 s22, s3, 0
	s_and_b32 s28, s12, 31
	v_or_b32_e32 v19, 0xffffffe0, v1
	s_add_co_i32 s28, s28, 1
	s_ashr_i32 s21, s20, 31
	v_cvt_f32_ubyte0_e32 v7, s28
	s_ashr_i32 s23, s22, 31
	v_cmp_eq_u32_e64 s1, 0x3ff, v0
	v_lshl_or_b32 v3, v0, 3, 0x2000
	v_cmp_eq_u32_e64 s2, 0, v2
	v_rcp_iflag_f32_e32 v9, v7
	v_cmp_ne_u32_e64 s3, 0, v2
	v_cmp_lt_u32_e64 s4, 1, v2
	v_cmp_lt_u32_e64 s5, 3, v2
	v_lshlrev_b32_e32 v15, 2, v6
	v_cmp_lt_u32_e64 s6, 7, v2
	v_cmp_lt_u32_e64 s7, 15, v2
	v_mul_f32_e32 v9, v8, v9
	v_cmp_lt_u32_e64 s8, 31, v2
	v_cmp_eq_u32_e64 s9, 63, v2
	v_lshl_or_b32 v17, v6, 9, 0x21c0
	v_cmp_gt_u32_e64 s11, s28, v6
	v_trunc_f32_e32 v9, v9
	v_add_nc_u32_e32 v18, -16, v1
	s_lshl_b64 s[30:31], s[20:21], 2
	s_lshl_b64 s[34:35], s[22:23], 2
	s_add_nc_u64 s[22:23], s[18:19], s[30:31]
	v_fma_f32 v8, -v9, v7, v8
	v_cvt_u32_f32_e32 v9, v9
	s_add_nc_u64 s[18:19], s[18:19], s[34:35]
	v_cmp_gt_u32_e32 vcc_lo, 64, v0
	s_delay_alu instid0(VALU_DEP_3) | instskip(NEXT) | instid1(VALU_DEP_1)
	v_cmp_ge_f32_e64 s10, |v8|, v7
	v_add_co_ci_u32_e64 v7, null, 0, v9, s10
	v_cmp_gt_i32_e64 s10, 0, v10
	v_lshlrev_b32_e32 v16, 2, v2
	s_delay_alu instid0(VALU_DEP_3) | instskip(NEXT) | instid1(VALU_DEP_3)
	v_mul_lo_u32 v7, v7, s28
	v_cndmask_b32_e64 v9, v10, v1, s10
	v_cmp_gt_i32_e64 s10, 0, v11
	s_delay_alu instid0(VALU_DEP_4) | instskip(NEXT) | instid1(VALU_DEP_3)
	v_dual_lshlrev_b32 v8, 3, v6 :: v_dual_add_nc_u32 v30, v16, v16
	v_lshlrev_b32_e32 v20, 2, v9
	s_delay_alu instid0(VALU_DEP_3) | instskip(SKIP_3) | instid1(VALU_DEP_3)
	v_cndmask_b32_e64 v10, v11, v1, s10
	v_cmp_gt_i32_e64 s10, 0, v12
	v_mul_u32_u24_e32 v9, s28, v2
	v_sub_nc_u32_e32 v7, v0, v7
	v_cndmask_b32_e64 v11, v12, v1, s10
	v_cmp_gt_i32_e64 s10, 0, v13
	s_delay_alu instid0(VALU_DEP_3) | instskip(SKIP_1) | instid1(VALU_DEP_3)
	v_and_b32_e32 v7, 0x3ff, v7
	v_lshl_add_u32 v27, v9, 3, v8
	v_cndmask_b32_e64 v12, v13, v1, s10
	v_cmp_gt_i32_e64 s10, 0, v18
	s_delay_alu instid0(VALU_DEP_4) | instskip(SKIP_1) | instid1(VALU_DEP_3)
	v_mad_u32_u24 v7, v6, s28, v7
	v_dual_lshlrev_b32 v21, 2, v10 :: v_dual_lshlrev_b32 v22, 2, v11
	v_cndmask_b32_e64 v13, v18, v1, s10
	v_cmp_gt_i32_e64 s10, 0, v19
	v_add_nc_u32_e32 v18, -4, v15
	v_subrev_nc_u32_e32 v10, s28, v7
	s_delay_alu instid0(VALU_DEP_3) | instskip(SKIP_3) | instid1(VALU_DEP_3)
	v_dual_lshlrev_b32 v28, 3, v7 :: v_dual_cndmask_b32 v25, v19, v1, s10
	v_dual_add_nc_u32 v19, v15, v15 :: v_dual_lshlrev_b32 v23, 2, v12
	v_lshlrev_b32_e32 v24, 2, v13
	v_cmp_gt_u32_e64 s10, s28, v5
	v_dual_lshlrev_b32 v25, 2, v25 :: v_dual_add_nc_u32 v26, -8, v19
	v_lshlrev_b32_e32 v29, 3, v10
	s_branch .LBB2_3
.LBB2_2:                                ;   in Loop: Header=BB2_3 Depth=1
	s_wait_xcnt 0x0
	s_or_b32 exec_lo, exec_lo, s21
	s_add_co_i32 s20, s20, s25
	s_delay_alu instid0(SALU_CYCLE_1)
	s_cmp_ge_i32 s20, s24
	s_cbranch_scc1 .LBB2_78
.LBB2_3:                                ; =>This Loop Header: Depth=1
                                        ;     Child Loop BB2_14 Depth 2
                                        ;     Child Loop BB2_52 Depth 2
	;; [unrolled: 1-line block ×3, first 2 shown]
	v_lshl_or_b32 v31, s20, 10, v0
	v_mov_b32_e32 v5, v4
	s_mov_b32 s21, exec_lo
	s_delay_alu instid0(VALU_DEP_2)
	v_cmpx_ge_i32_e64 s26, v31
	s_cbranch_execz .LBB2_5
; %bb.4:                                ;   in Loop: Header=BB2_3 Depth=1
	v_ashrrev_i32_e32 v5, 31, v31
	s_delay_alu instid0(VALU_DEP_1) | instskip(NEXT) | instid1(VALU_DEP_1)
	v_lshrrev_b32_e32 v5, 26, v5
	v_add_nc_u32_e32 v5, v31, v5
	s_delay_alu instid0(VALU_DEP_1) | instskip(SKIP_4) | instid1(VALU_DEP_1)
	v_ashrrev_i32_e32 v5, 6, v5
	global_load_b64 v[6:7], v5, s[14:15] offset:8 scale_offset
	s_wait_loadcnt 0x0
	v_lshrrev_b64 v[6:7], v2, v[6:7]
	s_wait_xcnt 0x0
	v_and_b32_e32 v5, 1, v6
.LBB2_5:                                ;   in Loop: Header=BB2_3 Depth=1
	s_or_b32 exec_lo, exec_lo, s21
	ds_bpermute_b32 v6, v20, v5
	s_wait_dscnt 0x0
	s_barrier_signal -1
	s_barrier_wait -1
	v_cndmask_b32_e64 v6, v6, 0, s2
	s_delay_alu instid0(VALU_DEP_1) | instskip(SKIP_3) | instid1(VALU_DEP_1)
	v_add_nc_u32_e32 v6, v6, v5
	ds_bpermute_b32 v7, v21, v6
	s_wait_dscnt 0x0
	v_cndmask_b32_e64 v7, 0, v7, s4
	v_add_nc_u32_e32 v6, v6, v7
	ds_bpermute_b32 v7, v22, v6
	s_wait_dscnt 0x0
	v_cndmask_b32_e64 v7, 0, v7, s5
	s_delay_alu instid0(VALU_DEP_1) | instskip(SKIP_3) | instid1(VALU_DEP_1)
	v_add_nc_u32_e32 v6, v6, v7
	ds_bpermute_b32 v7, v23, v6
	s_wait_dscnt 0x0
	v_cndmask_b32_e64 v7, 0, v7, s6
	v_add_nc_u32_e32 v6, v6, v7
	ds_bpermute_b32 v7, v24, v6
	s_wait_dscnt 0x0
	v_cndmask_b32_e64 v7, 0, v7, s7
	s_delay_alu instid0(VALU_DEP_1) | instskip(SKIP_3) | instid1(VALU_DEP_1)
	v_add_nc_u32_e32 v6, v6, v7
	ds_bpermute_b32 v7, v25, v6
	s_wait_dscnt 0x0
	v_cndmask_b32_e64 v7, 0, v7, s8
	v_add_nc_u32_e32 v6, v6, v7
	s_and_saveexec_b32 s12, s9
; %bb.6:                                ;   in Loop: Header=BB2_3 Depth=1
	ds_store_b32 v15, v6
; %bb.7:                                ;   in Loop: Header=BB2_3 Depth=1
	s_or_b32 exec_lo, exec_lo, s12
	s_wait_dscnt 0x0
	s_barrier_signal -1
	s_barrier_wait -1
	s_and_saveexec_b32 s12, vcc_lo
	s_cbranch_execz .LBB2_9
; %bb.8:                                ;   in Loop: Header=BB2_3 Depth=1
	ds_load_b32 v7, v16
	s_wait_dscnt 0x0
	ds_bpermute_b32 v8, v20, v7
	s_wait_dscnt 0x0
	v_cndmask_b32_e64 v8, v8, 0, s2
	s_delay_alu instid0(VALU_DEP_1) | instskip(SKIP_3) | instid1(VALU_DEP_1)
	v_add_nc_u32_e32 v7, v8, v7
	ds_bpermute_b32 v8, v21, v7
	s_wait_dscnt 0x0
	v_cndmask_b32_e64 v8, 0, v8, s4
	v_add_nc_u32_e32 v7, v8, v7
	ds_bpermute_b32 v8, v22, v7
	s_wait_dscnt 0x0
	v_cndmask_b32_e64 v8, 0, v8, s5
	s_delay_alu instid0(VALU_DEP_1) | instskip(SKIP_3) | instid1(VALU_DEP_1)
	v_add_nc_u32_e32 v7, v8, v7
	ds_bpermute_b32 v8, v23, v7
	s_wait_dscnt 0x0
	v_cndmask_b32_e64 v8, 0, v8, s6
	v_add_nc_u32_e32 v7, v8, v7
	;; [unrolled: 9-line block ×3, first 2 shown]
	ds_store_b32 v16, v7
.LBB2_9:                                ;   in Loop: Header=BB2_3 Depth=1
	s_or_b32 exec_lo, exec_lo, s12
	v_cndmask_b32_e64 v8, v6, v5, s2
	s_wait_dscnt 0x0
	s_barrier_signal -1
	s_barrier_wait -1
	s_and_saveexec_b32 s12, s0
	s_cbranch_execz .LBB2_11
; %bb.10:                               ;   in Loop: Header=BB2_3 Depth=1
	ds_load_b32 v6, v18
	s_wait_dscnt 0x0
	v_add_nc_u32_e32 v8, v6, v8
.LBB2_11:                               ;   in Loop: Header=BB2_3 Depth=1
	s_or_b32 exec_lo, exec_lo, s12
	s_and_saveexec_b32 s21, s1
	s_cbranch_execz .LBB2_17
; %bb.12:                               ;   in Loop: Header=BB2_3 Depth=1
	v_mov_b32_e32 v9, s27
	s_cmp_lt_i32 s20, 1
	s_cbranch_scc1 .LBB2_16
; %bb.13:                               ;   in Loop: Header=BB2_3 Depth=1
	s_mov_b32 s29, 0
.LBB2_14:                               ;   Parent Loop BB2_3 Depth=1
                                        ; =>  This Inner Loop Header: Depth=2
	flat_load_b32 v9, v4, s[22:23] scope:SCOPE_SYS
	s_wait_loadcnt_dscnt 0x0
	v_cmp_lt_i32_e64 s12, -1, v9
	s_or_b32 s29, s12, s29
	s_wait_xcnt 0x0
	s_and_not1_b32 exec_lo, exec_lo, s29
	s_cbranch_execnz .LBB2_14
; %bb.15:                               ;   in Loop: Header=BB2_3 Depth=1
	s_or_b32 exec_lo, exec_lo, s29
.LBB2_16:                               ;   in Loop: Header=BB2_3 Depth=1
	s_delay_alu instid0(VALU_DEP_1)
	v_add_nc_u32_e32 v6, v9, v8
	flat_store_b32 v4, v6, s[18:19] scope:SCOPE_SYS
	s_wait_storecnt 0x0
	flat_store_b32 v4, v14, s[22:23] scope:SCOPE_SYS
	s_wait_storecnt 0x0
	ds_store_b64 v4, v[8:9] offset:16384
.LBB2_17:                               ;   in Loop: Header=BB2_3 Depth=1
	s_wait_xcnt 0x0
	s_or_b32 exec_lo, exec_lo, s21
	s_wait_dscnt 0x0
	s_barrier_signal -1
	s_barrier_wait -1
	ds_load_b32 v6, v4 offset:16384
	s_mov_b32 s21, exec_lo
	s_wait_dscnt 0x0
	v_cmpx_lt_i32_e64 v0, v6
	s_cbranch_execz .LBB2_19
; %bb.18:                               ;   in Loop: Header=BB2_3 Depth=1
	ds_load_b32 v6, v4 offset:16388
	s_wait_dscnt 0x0
	v_add_nc_u32_e32 v6, v6, v0
	global_load_b64 v[6:7], v6, s[14:15] scale_offset
	s_wait_loadcnt 0x0
	ds_store_b64 v3, v[6:7]
.LBB2_19:                               ;   in Loop: Header=BB2_3 Depth=1
	s_wait_xcnt 0x0
	s_or_b32 exec_lo, exec_lo, s21
	v_mov_b64_e32 v[6:7], 0
	s_mov_b32 s21, exec_lo
	s_wait_dscnt 0x0
	s_barrier_signal -1
	s_barrier_wait -1
	v_cmpx_ne_u32_e32 0, v5
; %bb.20:                               ;   in Loop: Header=BB2_3 Depth=1
	v_lshlrev_b32_e32 v5, 3, v8
	ds_load_b64 v[6:7], v5 offset:8184
; %bb.21:                               ;   in Loop: Header=BB2_3 Depth=1
	s_or_b32 exec_lo, exec_lo, s21
	s_wait_dscnt 0x0
	ds_bpermute_b32 v10, v20, v6
	ds_bpermute_b32 v5, v20, v7
	v_mov_b32_e32 v8, v6
	s_and_saveexec_b32 s12, s3
	s_cbranch_execz .LBB2_23
; %bb.22:                               ;   in Loop: Header=BB2_3 Depth=1
	v_mov_b32_e32 v11, v4
	s_wait_dscnt 0x1
	s_delay_alu instid0(VALU_DEP_1) | instskip(SKIP_1) | instid1(VALU_DEP_1)
	v_add_nc_u64_e32 v[8:9], v[6:7], v[10:11]
	s_wait_dscnt 0x0
	v_add_nc_u64_e32 v[6:7], v[4:5], v[8:9]
.LBB2_23:                               ;   in Loop: Header=BB2_3 Depth=1
	s_or_b32 exec_lo, exec_lo, s12
	s_wait_dscnt 0x1
	ds_bpermute_b32 v10, v21, v8
	s_wait_dscnt 0x1
	ds_bpermute_b32 v5, v21, v7
	s_and_saveexec_b32 s12, s4
	s_cbranch_execz .LBB2_25
; %bb.24:                               ;   in Loop: Header=BB2_3 Depth=1
	v_mov_b32_e32 v11, v4
	s_wait_dscnt 0x1
	s_delay_alu instid0(VALU_DEP_1) | instskip(SKIP_1) | instid1(VALU_DEP_1)
	v_add_nc_u64_e32 v[8:9], v[6:7], v[10:11]
	s_wait_dscnt 0x0
	v_add_nc_u64_e32 v[6:7], v[4:5], v[8:9]
.LBB2_25:                               ;   in Loop: Header=BB2_3 Depth=1
	s_or_b32 exec_lo, exec_lo, s12
	s_wait_dscnt 0x1
	ds_bpermute_b32 v10, v22, v8
	s_wait_dscnt 0x1
	ds_bpermute_b32 v5, v22, v7
	;; [unrolled: 15-line block ×4, first 2 shown]
	s_and_saveexec_b32 s12, s7
	s_cbranch_execz .LBB2_31
; %bb.30:                               ;   in Loop: Header=BB2_3 Depth=1
	v_mov_b32_e32 v11, v4
	s_wait_dscnt 0x1
	s_delay_alu instid0(VALU_DEP_1) | instskip(SKIP_1) | instid1(VALU_DEP_1)
	v_add_nc_u64_e32 v[8:9], v[6:7], v[10:11]
	s_wait_dscnt 0x0
	v_add_nc_u64_e32 v[6:7], v[4:5], v[8:9]
.LBB2_31:                               ;   in Loop: Header=BB2_3 Depth=1
	s_or_b32 exec_lo, exec_lo, s12
	ds_bpermute_b32 v8, v25, v8
	s_wait_dscnt 0x1
	ds_bpermute_b32 v5, v25, v7
	s_and_saveexec_b32 s12, s8
	s_cbranch_execz .LBB2_33
; %bb.32:                               ;   in Loop: Header=BB2_3 Depth=1
	v_mov_b32_e32 v9, v4
	s_wait_dscnt 0x1
	s_delay_alu instid0(VALU_DEP_1) | instskip(SKIP_1) | instid1(VALU_DEP_1)
	v_add_nc_u64_e32 v[6:7], v[6:7], v[8:9]
	s_wait_dscnt 0x0
	v_add_nc_u64_e32 v[6:7], v[6:7], v[4:5]
.LBB2_33:                               ;   in Loop: Header=BB2_3 Depth=1
	s_or_b32 exec_lo, exec_lo, s12
	s_and_saveexec_b32 s12, s9
; %bb.34:                               ;   in Loop: Header=BB2_3 Depth=1
	ds_store_b64 v19, v[6:7]
; %bb.35:                               ;   in Loop: Header=BB2_3 Depth=1
	s_or_b32 exec_lo, exec_lo, s12
	s_wait_dscnt 0x0
	s_barrier_signal -1
	s_barrier_wait -1
	s_and_saveexec_b32 s12, vcc_lo
	s_cbranch_execz .LBB2_49
; %bb.36:                               ;   in Loop: Header=BB2_3 Depth=1
	ds_load_b64 v[10:11], v30
	s_wait_dscnt 0x0
	ds_bpermute_b32 v12, v20, v10
	ds_bpermute_b32 v5, v20, v11
	v_mov_b64_e32 v[8:9], v[10:11]
	s_and_saveexec_b32 s21, s3
	s_cbranch_execz .LBB2_38
; %bb.37:                               ;   in Loop: Header=BB2_3 Depth=1
	v_mov_b32_e32 v13, v4
	s_wait_dscnt 0x1
	s_delay_alu instid0(VALU_DEP_1) | instskip(SKIP_1) | instid1(VALU_DEP_1)
	v_add_nc_u64_e32 v[10:11], v[10:11], v[12:13]
	s_wait_dscnt 0x0
	v_add_nc_u64_e32 v[8:9], v[4:5], v[10:11]
	s_delay_alu instid0(VALU_DEP_1)
	v_mov_b32_e32 v11, v9
.LBB2_38:                               ;   in Loop: Header=BB2_3 Depth=1
	s_or_b32 exec_lo, exec_lo, s21
	s_wait_dscnt 0x1
	ds_bpermute_b32 v12, v21, v10
	s_wait_dscnt 0x1
	ds_bpermute_b32 v5, v21, v11
	s_and_saveexec_b32 s21, s4
	s_cbranch_execz .LBB2_40
; %bb.39:                               ;   in Loop: Header=BB2_3 Depth=1
	v_mov_b32_e32 v13, v4
	s_wait_dscnt 0x1
	s_delay_alu instid0(VALU_DEP_1) | instskip(SKIP_1) | instid1(VALU_DEP_1)
	v_add_nc_u64_e32 v[10:11], v[8:9], v[12:13]
	s_wait_dscnt 0x0
	v_add_nc_u64_e32 v[8:9], v[4:5], v[10:11]
	s_delay_alu instid0(VALU_DEP_1)
	v_mov_b32_e32 v11, v9
.LBB2_40:                               ;   in Loop: Header=BB2_3 Depth=1
	s_or_b32 exec_lo, exec_lo, s21
	s_wait_dscnt 0x1
	ds_bpermute_b32 v12, v22, v10
	s_wait_dscnt 0x1
	ds_bpermute_b32 v5, v22, v11
	;; [unrolled: 17-line block ×4, first 2 shown]
	s_and_saveexec_b32 s21, s7
	s_cbranch_execz .LBB2_46
; %bb.45:                               ;   in Loop: Header=BB2_3 Depth=1
	v_mov_b32_e32 v13, v4
	s_wait_dscnt 0x1
	s_delay_alu instid0(VALU_DEP_1) | instskip(SKIP_1) | instid1(VALU_DEP_1)
	v_add_nc_u64_e32 v[10:11], v[8:9], v[12:13]
	s_wait_dscnt 0x0
	v_add_nc_u64_e32 v[8:9], v[4:5], v[10:11]
	s_delay_alu instid0(VALU_DEP_1)
	v_mov_b32_e32 v11, v9
.LBB2_46:                               ;   in Loop: Header=BB2_3 Depth=1
	s_or_b32 exec_lo, exec_lo, s21
	ds_bpermute_b32 v10, v25, v10
	s_wait_dscnt 0x1
	ds_bpermute_b32 v5, v25, v11
	s_and_saveexec_b32 s21, s8
	s_cbranch_execz .LBB2_48
; %bb.47:                               ;   in Loop: Header=BB2_3 Depth=1
	v_mov_b32_e32 v11, v4
	s_wait_dscnt 0x1
	s_delay_alu instid0(VALU_DEP_1) | instskip(SKIP_1) | instid1(VALU_DEP_1)
	v_add_nc_u64_e32 v[8:9], v[8:9], v[10:11]
	s_wait_dscnt 0x0
	v_add_nc_u64_e32 v[8:9], v[8:9], v[4:5]
.LBB2_48:                               ;   in Loop: Header=BB2_3 Depth=1
	s_or_b32 exec_lo, exec_lo, s21
	ds_store_b64 v30, v[8:9]
.LBB2_49:                               ;   in Loop: Header=BB2_3 Depth=1
	s_or_b32 exec_lo, exec_lo, s12
	s_wait_dscnt 0x0
	s_barrier_signal -1
	s_barrier_wait -1
	s_and_saveexec_b32 s12, s0
	s_cbranch_execz .LBB2_51
; %bb.50:                               ;   in Loop: Header=BB2_3 Depth=1
	ds_load_b64 v[8:9], v26
	s_wait_dscnt 0x0
	v_add_nc_u64_e32 v[6:7], v[8:9], v[6:7]
.LBB2_51:                               ;   in Loop: Header=BB2_3 Depth=1
	s_or_b32 exec_lo, exec_lo, s12
	v_mov_b64_e32 v[8:9], 0
	s_mov_b32 s12, 0
	ds_store_b64 v3, v[6:7]
	s_wait_dscnt 0x0
	s_barrier_signal -1
	s_barrier_wait -1
.LBB2_52:                               ;   Parent Loop BB2_3 Depth=1
                                        ; =>  This Inner Loop Header: Depth=2
	v_add_nc_u32_e32 v5, s12, v17
	s_sub_co_i32 s12, s12, 64
	ds_load_2addr_b64 v[10:13], v5 offset0:6 offset1:7
	ds_load_2addr_b64 v[32:35], v5 offset0:4 offset1:5
	s_cmp_eq_u32 s12, 0xfffffe00
	s_wait_dscnt 0x1
	v_lshrrev_b64 v[6:7], v2, v[12:13]
	v_lshlrev_b64_e32 v[12:13], 2, v[8:9]
	v_lshrrev_b64 v[8:9], v2, v[10:11]
	s_wait_dscnt 0x0
	v_lshrrev_b64 v[10:11], v2, v[34:35]
	v_lshrrev_b64 v[32:33], v2, v[32:33]
	s_delay_alu instid0(VALU_DEP_3) | instskip(NEXT) | instid1(VALU_DEP_2)
	v_dual_lshlrev_b32 v6, 1, v6 :: v_dual_bitop2_b32 v36, 1, v8 bitop3:0x40
	v_dual_lshlrev_b32 v10, 1, v10 :: v_dual_bitop2_b32 v32, 1, v32 bitop3:0x40
	s_delay_alu instid0(VALU_DEP_2) | instskip(SKIP_2) | instid1(VALU_DEP_1)
	v_and_or_b32 v12, v6, 2, v12
	ds_load_2addr_b64 v[6:9], v5 offset0:2 offset1:3
	v_or_b32_e32 v12, v36, v12
	v_lshlrev_b64_e32 v[34:35], 2, v[12:13]
	s_delay_alu instid0(VALU_DEP_1)
	v_and_or_b32 v33, v10, 2, v34
	ds_load_2addr_b64 v[10:13], v5 offset1:1
	s_wait_dscnt 0x1
	v_lshrrev_b64 v[8:9], v2, v[8:9]
	v_or_b32_e32 v34, v32, v33
	v_lshrrev_b64 v[6:7], v2, v[6:7]
	s_delay_alu instid0(VALU_DEP_3) | instskip(NEXT) | instid1(VALU_DEP_3)
	v_lshlrev_b32_e32 v5, 1, v8
	v_lshlrev_b64_e32 v[32:33], 2, v[34:35]
	s_delay_alu instid0(VALU_DEP_3) | instskip(NEXT) | instid1(VALU_DEP_2)
	v_and_b32_e32 v8, 1, v6
	v_and_or_b32 v5, v5, 2, v32
	s_wait_dscnt 0x0
	v_lshrrev_b64 v[6:7], v2, v[12:13]
	v_lshrrev_b64 v[10:11], v2, v[10:11]
	s_delay_alu instid0(VALU_DEP_2) | instskip(NEXT) | instid1(VALU_DEP_1)
	v_dual_lshlrev_b32 v5, 1, v6 :: v_dual_bitop2_b32 v32, v8, v5 bitop3:0x54
	v_lshlrev_b64_e32 v[8:9], 2, v[32:33]
	s_delay_alu instid0(VALU_DEP_3) | instskip(NEXT) | instid1(VALU_DEP_2)
	v_and_b32_e32 v6, 1, v10
	v_and_or_b32 v5, v5, 2, v8
	s_delay_alu instid0(VALU_DEP_1)
	v_or_b32_e32 v8, v6, v5
	s_cbranch_scc0 .LBB2_52
; %bb.53:                               ;   in Loop: Header=BB2_3 Depth=1
	s_mov_b32 s21, s28
.LBB2_54:                               ;   Parent Loop BB2_3 Depth=1
                                        ; =>  This Inner Loop Header: Depth=2
	s_wait_dscnt 0x0
	v_subrev_nc_u32_e32 v5, s21, v1
	s_mov_b32 s29, exec_lo
	s_delay_alu instid0(VALU_DEP_1) | instskip(NEXT) | instid1(VALU_DEP_1)
	v_cmp_gt_i32_e64 s12, 0, v5
	v_cndmask_b32_e64 v5, v5, v1, s12
	s_delay_alu instid0(VALU_DEP_1)
	v_lshlrev_b32_e32 v5, 2, v5
	ds_bpermute_b32 v6, v5, v8
	ds_bpermute_b32 v5, v5, v9
	v_cmpx_le_u32_e64 s21, v2
	s_cbranch_execz .LBB2_56
; %bb.55:                               ;   in Loop: Header=BB2_54 Depth=2
	v_mov_b32_e32 v7, v4
	s_wait_dscnt 0x1
	s_delay_alu instid0(VALU_DEP_1) | instskip(SKIP_1) | instid1(VALU_DEP_1)
	v_add_nc_u64_e32 v[6:7], v[8:9], v[6:7]
	s_wait_dscnt 0x0
	v_add_nc_u64_e32 v[8:9], v[6:7], v[4:5]
.LBB2_56:                               ;   in Loop: Header=BB2_54 Depth=2
	s_or_b32 exec_lo, exec_lo, s29
	s_lshl_b32 s12, s21, 1
	s_cmp_gt_u32 s21, 31
	s_cbranch_scc1 .LBB2_58
; %bb.57:                               ;   in Loop: Header=BB2_54 Depth=2
	s_mov_b32 s21, s12
	s_branch .LBB2_54
.LBB2_58:                               ;   in Loop: Header=BB2_3 Depth=1
	s_and_saveexec_b32 s12, s10
; %bb.59:                               ;   in Loop: Header=BB2_3 Depth=1
	ds_store_b64 v28, v[8:9]
; %bb.60:                               ;   in Loop: Header=BB2_3 Depth=1
	s_or_b32 exec_lo, exec_lo, s12
	s_wait_dscnt 0x0
	s_barrier_signal -1
	s_barrier_wait -1
	s_and_saveexec_b32 s12, s11
	s_cbranch_execz .LBB2_74
; %bb.61:                               ;   in Loop: Header=BB2_3 Depth=1
	ds_load_b64 v[10:11], v27
	s_wait_dscnt 0x0
	ds_bpermute_b32 v12, v20, v10
	ds_bpermute_b32 v5, v20, v11
	v_mov_b64_e32 v[6:7], v[10:11]
	s_and_saveexec_b32 s21, s3
	s_cbranch_execz .LBB2_63
; %bb.62:                               ;   in Loop: Header=BB2_3 Depth=1
	v_mov_b32_e32 v13, v4
	s_wait_dscnt 0x1
	s_delay_alu instid0(VALU_DEP_1) | instskip(SKIP_1) | instid1(VALU_DEP_1)
	v_add_nc_u64_e32 v[10:11], v[10:11], v[12:13]
	s_wait_dscnt 0x0
	v_add_nc_u64_e32 v[6:7], v[4:5], v[10:11]
	s_delay_alu instid0(VALU_DEP_1)
	v_mov_b32_e32 v11, v7
.LBB2_63:                               ;   in Loop: Header=BB2_3 Depth=1
	s_or_b32 exec_lo, exec_lo, s21
	s_wait_dscnt 0x1
	ds_bpermute_b32 v12, v21, v10
	s_wait_dscnt 0x1
	ds_bpermute_b32 v5, v21, v11
	s_and_saveexec_b32 s21, s4
	s_cbranch_execz .LBB2_65
; %bb.64:                               ;   in Loop: Header=BB2_3 Depth=1
	v_mov_b32_e32 v13, v4
	s_wait_dscnt 0x1
	s_delay_alu instid0(VALU_DEP_1) | instskip(SKIP_1) | instid1(VALU_DEP_1)
	v_add_nc_u64_e32 v[10:11], v[6:7], v[12:13]
	s_wait_dscnt 0x0
	v_add_nc_u64_e32 v[6:7], v[4:5], v[10:11]
	s_delay_alu instid0(VALU_DEP_1)
	v_mov_b32_e32 v11, v7
.LBB2_65:                               ;   in Loop: Header=BB2_3 Depth=1
	s_or_b32 exec_lo, exec_lo, s21
	s_wait_dscnt 0x1
	ds_bpermute_b32 v12, v22, v10
	s_wait_dscnt 0x1
	ds_bpermute_b32 v5, v22, v11
	;; [unrolled: 17-line block ×4, first 2 shown]
	s_and_saveexec_b32 s21, s7
	s_cbranch_execz .LBB2_71
; %bb.70:                               ;   in Loop: Header=BB2_3 Depth=1
	v_mov_b32_e32 v13, v4
	s_wait_dscnt 0x1
	s_delay_alu instid0(VALU_DEP_1) | instskip(SKIP_1) | instid1(VALU_DEP_1)
	v_add_nc_u64_e32 v[10:11], v[6:7], v[12:13]
	s_wait_dscnt 0x0
	v_add_nc_u64_e32 v[6:7], v[4:5], v[10:11]
	s_delay_alu instid0(VALU_DEP_1)
	v_mov_b32_e32 v11, v7
.LBB2_71:                               ;   in Loop: Header=BB2_3 Depth=1
	s_or_b32 exec_lo, exec_lo, s21
	ds_bpermute_b32 v10, v25, v10
	s_wait_dscnt 0x1
	ds_bpermute_b32 v5, v25, v11
	s_and_saveexec_b32 s21, s8
	s_cbranch_execz .LBB2_73
; %bb.72:                               ;   in Loop: Header=BB2_3 Depth=1
	v_mov_b32_e32 v11, v4
	s_wait_dscnt 0x1
	s_delay_alu instid0(VALU_DEP_1) | instskip(SKIP_1) | instid1(VALU_DEP_1)
	v_add_nc_u64_e32 v[6:7], v[6:7], v[10:11]
	s_wait_dscnt 0x0
	v_add_nc_u64_e32 v[6:7], v[6:7], v[4:5]
.LBB2_73:                               ;   in Loop: Header=BB2_3 Depth=1
	s_or_b32 exec_lo, exec_lo, s21
	ds_store_b64 v27, v[6:7]
.LBB2_74:                               ;   in Loop: Header=BB2_3 Depth=1
	s_or_b32 exec_lo, exec_lo, s12
	s_wait_dscnt 0x0
	s_barrier_signal -1
	s_barrier_wait -1
	s_and_saveexec_b32 s12, s0
	s_cbranch_execnz .LBB2_76
; %bb.75:                               ;   in Loop: Header=BB2_3 Depth=1
	s_or_b32 exec_lo, exec_lo, s12
	s_delay_alu instid0(SALU_CYCLE_1)
	s_mov_b32 s21, exec_lo
	v_cmpx_gt_i32_e64 s13, v31
	s_cbranch_execz .LBB2_2
	s_branch .LBB2_77
.LBB2_76:                               ;   in Loop: Header=BB2_3 Depth=1
	ds_load_b64 v[6:7], v29
	s_wait_dscnt 0x0
	v_add_nc_u64_e32 v[8:9], v[6:7], v[8:9]
	s_or_b32 exec_lo, exec_lo, s12
	s_delay_alu instid0(SALU_CYCLE_1)
	s_mov_b32 s21, exec_lo
	v_cmpx_gt_i32_e64 s13, v31
	s_cbranch_execz .LBB2_2
.LBB2_77:                               ;   in Loop: Header=BB2_3 Depth=1
	global_store_b64 v31, v[8:9], s[16:17] scale_offset
	s_branch .LBB2_2
.LBB2_78:
	s_endpgm
	.section	.rodata,"a",@progbits
	.p2align	6, 0x0
	.amdhsa_kernel _ZL13MPCdecompressILi64EEvPlS0_PVi
		.amdhsa_group_segment_fixed_size 16392
		.amdhsa_private_segment_fixed_size 0
		.amdhsa_kernarg_size 280
		.amdhsa_user_sgpr_count 2
		.amdhsa_user_sgpr_dispatch_ptr 0
		.amdhsa_user_sgpr_queue_ptr 0
		.amdhsa_user_sgpr_kernarg_segment_ptr 1
		.amdhsa_user_sgpr_dispatch_id 0
		.amdhsa_user_sgpr_kernarg_preload_length 0
		.amdhsa_user_sgpr_kernarg_preload_offset 0
		.amdhsa_user_sgpr_private_segment_size 0
		.amdhsa_wavefront_size32 1
		.amdhsa_uses_dynamic_stack 0
		.amdhsa_enable_private_segment 0
		.amdhsa_system_sgpr_workgroup_id_x 1
		.amdhsa_system_sgpr_workgroup_id_y 0
		.amdhsa_system_sgpr_workgroup_id_z 0
		.amdhsa_system_sgpr_workgroup_info 0
		.amdhsa_system_vgpr_workitem_id 0
		.amdhsa_next_free_vgpr 37
		.amdhsa_next_free_sgpr 36
		.amdhsa_named_barrier_count 0
		.amdhsa_reserve_vcc 1
		.amdhsa_float_round_mode_32 0
		.amdhsa_float_round_mode_16_64 0
		.amdhsa_float_denorm_mode_32 3
		.amdhsa_float_denorm_mode_16_64 3
		.amdhsa_fp16_overflow 0
		.amdhsa_memory_ordered 1
		.amdhsa_forward_progress 1
		.amdhsa_inst_pref_size 27
		.amdhsa_round_robin_scheduling 0
		.amdhsa_exception_fp_ieee_invalid_op 0
		.amdhsa_exception_fp_denorm_src 0
		.amdhsa_exception_fp_ieee_div_zero 0
		.amdhsa_exception_fp_ieee_overflow 0
		.amdhsa_exception_fp_ieee_underflow 0
		.amdhsa_exception_fp_ieee_inexact 0
		.amdhsa_exception_int_div_zero 0
	.end_amdhsa_kernel
	.section	.text._ZL13MPCdecompressILi64EEvPlS0_PVi,"axG",@progbits,_ZL13MPCdecompressILi64EEvPlS0_PVi,comdat
.Lfunc_end2:
	.size	_ZL13MPCdecompressILi64EEvPlS0_PVi, .Lfunc_end2-_ZL13MPCdecompressILi64EEvPlS0_PVi
                                        ; -- End function
	.set _ZL13MPCdecompressILi64EEvPlS0_PVi.num_vgpr, 37
	.set _ZL13MPCdecompressILi64EEvPlS0_PVi.num_agpr, 0
	.set _ZL13MPCdecompressILi64EEvPlS0_PVi.numbered_sgpr, 36
	.set _ZL13MPCdecompressILi64EEvPlS0_PVi.num_named_barrier, 0
	.set _ZL13MPCdecompressILi64EEvPlS0_PVi.private_seg_size, 0
	.set _ZL13MPCdecompressILi64EEvPlS0_PVi.uses_vcc, 1
	.set _ZL13MPCdecompressILi64EEvPlS0_PVi.uses_flat_scratch, 0
	.set _ZL13MPCdecompressILi64EEvPlS0_PVi.has_dyn_sized_stack, 0
	.set _ZL13MPCdecompressILi64EEvPlS0_PVi.has_recursion, 0
	.set _ZL13MPCdecompressILi64EEvPlS0_PVi.has_indirect_call, 0
	.section	.AMDGPU.csdata,"",@progbits
; Kernel info:
; codeLenInByte = 3340
; TotalNumSgprs: 38
; NumVgprs: 37
; ScratchSize: 0
; MemoryBound: 0
; FloatMode: 240
; IeeeMode: 1
; LDSByteSize: 16392 bytes/workgroup (compile time only)
; SGPRBlocks: 0
; VGPRBlocks: 2
; NumSGPRsForWavesPerEU: 38
; NumVGPRsForWavesPerEU: 37
; NamedBarCnt: 0
; Occupancy: 16
; WaveLimiterHint : 0
; COMPUTE_PGM_RSRC2:SCRATCH_EN: 0
; COMPUTE_PGM_RSRC2:USER_SGPR: 2
; COMPUTE_PGM_RSRC2:TRAP_HANDLER: 0
; COMPUTE_PGM_RSRC2:TGID_X_EN: 1
; COMPUTE_PGM_RSRC2:TGID_Y_EN: 0
; COMPUTE_PGM_RSRC2:TGID_Z_EN: 0
; COMPUTE_PGM_RSRC2:TIDIG_COMP_CNT: 0
	.section	.text._ZL13MPCdecompressILi32EEvPlS0_PVi,"axG",@progbits,_ZL13MPCdecompressILi32EEvPlS0_PVi,comdat
	.globl	_ZL13MPCdecompressILi32EEvPlS0_PVi ; -- Begin function _ZL13MPCdecompressILi32EEvPlS0_PVi
	.p2align	8
	.type	_ZL13MPCdecompressILi32EEvPlS0_PVi,@function
_ZL13MPCdecompressILi32EEvPlS0_PVi:     ; @_ZL13MPCdecompressILi32EEvPlS0_PVi
; %bb.0:
	s_load_b64 s[16:17], s[0:1], 0x0
	s_bfe_u32 s2, ttmp6, 0x4000c
	s_and_b32 s3, ttmp6, 15
	s_add_co_i32 s2, s2, 1
	s_getreg_b32 s4, hwreg(HW_REG_IB_STS2, 6, 4)
	s_mul_i32 s2, ttmp9, s2
	s_delay_alu instid0(SALU_CYCLE_1)
	s_add_co_i32 s3, s3, s2
	s_cmp_eq_u32 s4, 0
	s_cselect_b32 s20, ttmp9, s3
	s_wait_kmcnt 0x0
	s_load_b64 s[18:19], s[16:17], 0x0
	s_wait_kmcnt 0x0
	s_add_co_i32 s2, s19, 0x3ff
	s_delay_alu instid0(SALU_CYCLE_1) | instskip(NEXT) | instid1(SALU_CYCLE_1)
	s_ashr_i32 s3, s2, 31
	s_lshr_b32 s3, s3, 22
	s_delay_alu instid0(SALU_CYCLE_1) | instskip(NEXT) | instid1(SALU_CYCLE_1)
	s_add_co_i32 s2, s2, s3
	s_ashr_i32 s24, s2, 10
	s_delay_alu instid0(SALU_CYCLE_1)
	s_cmp_ge_i32 s20, s24
	s_cbranch_scc1 .LBB3_72
; %bb.1:
	s_clause 0x1
	s_load_b32 s25, s[0:1], 0x18
	s_load_b128 s[12:15], s[0:1], 0x8
	s_wait_xcnt 0x0
	s_add_co_i32 s0, s19, 63
	s_add_co_i32 s1, s19, -1
	s_ashr_i32 s3, s0, 31
	s_add_co_i32 s2, s20, 1
	s_lshr_b32 s3, s3, 26
	s_or_b32 s26, s1, 63
	s_add_co_i32 s0, s0, s3
	v_cvt_f32_u32_e32 v8, v0
	s_ashr_i32 s27, s0, 6
	v_mbcnt_lo_u32_b32 v3, -1, 0
	s_add_co_i32 s27, s27, 1
	v_dual_lshrrev_b32 v5, 5, v0 :: v_dual_bitop2_b32 v1, 31, v0 bitop3:0x40
	v_dual_mov_b32 v14, -1 :: v_dual_lshlrev_b32 v7, 3, v0
	s_delay_alu instid0(VALU_DEP_3)
	v_dual_add_nc_u32 v10, -1, v3 :: v_dual_add_nc_u32 v11, -2, v3
	s_movk_i32 s11, 0x1e00
	s_wait_kmcnt 0x0
	s_cmp_lg_u32 s2, s25
	v_or_b32_e32 v17, 0x2000, v7
	s_cselect_b32 s10, s2, 0
	s_and_b32 s30, s18, 31
	v_and_or_b32 v18, v7, s11, 0x21c0
	s_add_co_i32 s18, s30, 1
	v_dual_add_nc_u32 v13, -8, v3 :: v_dual_add_nc_u32 v19, -16, v3
	v_cvt_f32_ubyte0_e32 v6, s18
	s_ashr_i32 s21, s20, 31
	s_ashr_i32 s11, s10, 31
	v_dual_mov_b32 v4, 0 :: v_dual_bitop2_b32 v2, 63, v0 bitop3:0x40
	s_delay_alu instid0(VALU_DEP_2)
	v_rcp_iflag_f32_e32 v9, v6
	v_cmp_gt_u32_e64 s0, 32, v0
	v_cmp_lt_u32_e64 s1, 31, v0
	v_cmp_eq_u32_e64 s2, 0x3ff, v0
	v_cmp_eq_u32_e64 s3, 0, v1
	v_add_nc_u32_e32 v12, -4, v3
	v_cmp_ne_u32_e64 s4, 0, v1
	v_mul_f32_e32 v9, v8, v9
	v_cmp_lt_u32_e64 s5, 1, v1
	v_cmp_lt_u32_e64 s6, 3, v1
	;; [unrolled: 1-line block ×4, first 2 shown]
	v_trunc_f32_e32 v9, v9
	v_cmp_eq_u32_e64 s9, 31, v1
	s_lshl_b64 s[22:23], s[20:21], 2
	v_lshlrev_b32_e32 v15, 2, v5
	s_lshl_b64 s[28:29], s[10:11], 2
	v_fma_f32 v8, -v9, v6, v8
	v_cvt_u32_f32_e32 v9, v9
	v_cmp_gt_u32_e64 s10, s18, v5
	s_cmp_lg_u32 s30, 31
	s_add_nc_u64 s[22:23], s[14:15], s[22:23]
	v_cmp_ge_f32_e64 vcc_lo, |v8|, v6
	s_add_nc_u64 s[14:15], s[14:15], s[28:29]
	s_cselect_b32 s21, -1, 0
	v_add_nc_u32_e32 v20, v15, v15
	v_add_co_ci_u32_e64 v6, null, 0, v9, vcc_lo
	v_cmp_gt_i32_e32 vcc_lo, 0, v10
	v_lshlrev_b32_e32 v16, 2, v1
	s_delay_alu instid0(VALU_DEP_3) | instskip(SKIP_2) | instid1(VALU_DEP_4)
	v_mul_lo_u32 v6, v6, s18
	v_cndmask_b32_e32 v7, v10, v3, vcc_lo
	v_cmp_gt_i32_e32 vcc_lo, 0, v11
	v_dual_lshlrev_b32 v8, 3, v5 :: v_dual_add_nc_u32 v30, v16, v16
	v_cndmask_b32_e32 v9, v11, v3, vcc_lo
	v_cmp_gt_i32_e32 vcc_lo, 0, v12
	v_dual_lshlrev_b32 v21, 2, v7 :: v_dual_sub_nc_u32 v6, v0, v6
	v_add_nc_u32_e32 v7, s18, v1
	s_delay_alu instid0(VALU_DEP_4) | instskip(SKIP_1) | instid1(VALU_DEP_4)
	v_dual_lshlrev_b32 v22, 2, v9 :: v_dual_cndmask_b32 v10, v12, v3, vcc_lo
	v_cmp_gt_i32_e32 vcc_lo, 0, v13
	v_and_b32_e32 v6, 0x3ff, v6
	v_mul_u32_u24_e32 v9, s18, v1
	v_cmp_lt_u32_e64 s11, 31, v7
	v_cndmask_b32_e32 v11, v13, v3, vcc_lo
	v_cmp_gt_i32_e32 vcc_lo, 0, v19
	v_mad_u32_u24 v6, v5, s18, v6
	v_dual_lshlrev_b32 v23, 2, v10 :: v_dual_add_nc_u32 v26, -8, v20
	s_delay_alu instid0(VALU_DEP_4) | instskip(SKIP_4) | instid1(VALU_DEP_4)
	v_lshlrev_b32_e32 v24, 2, v11
	v_cndmask_b32_e32 v12, v19, v3, vcc_lo
	v_add_nc_u32_e32 v19, -4, v15
	v_subrev_nc_u32_e32 v10, s18, v6
	v_lshl_add_u32 v27, v9, 3, v8
	v_dual_lshlrev_b32 v28, 3, v6 :: v_dual_lshlrev_b32 v25, 2, v12
	s_delay_alu instid0(VALU_DEP_3)
	v_lshlrev_b32_e32 v29, 3, v10
	s_branch .LBB3_3
.LBB3_2:                                ;   in Loop: Header=BB3_3 Depth=1
	s_wait_xcnt 0x0
	s_or_b32 exec_lo, exec_lo, s28
	s_add_co_i32 s20, s20, s25
	s_delay_alu instid0(SALU_CYCLE_1)
	s_cmp_ge_i32 s20, s24
	s_cbranch_scc1 .LBB3_72
.LBB3_3:                                ; =>This Loop Header: Depth=1
                                        ;     Child Loop BB3_14 Depth 2
                                        ;     Child Loop BB3_48 Depth 2
	;; [unrolled: 1-line block ×3, first 2 shown]
	v_lshl_or_b32 v31, s20, 10, v0
	v_mov_b32_e32 v5, v4
	s_mov_b32 s28, exec_lo
	s_delay_alu instid0(VALU_DEP_2)
	v_cmpx_ge_i32_e64 s26, v31
	s_cbranch_execz .LBB3_5
; %bb.4:                                ;   in Loop: Header=BB3_3 Depth=1
	v_ashrrev_i32_e32 v5, 31, v31
	s_delay_alu instid0(VALU_DEP_1) | instskip(NEXT) | instid1(VALU_DEP_1)
	v_lshrrev_b32_e32 v5, 26, v5
	v_add_nc_u32_e32 v5, v31, v5
	s_delay_alu instid0(VALU_DEP_1) | instskip(SKIP_4) | instid1(VALU_DEP_1)
	v_ashrrev_i32_e32 v5, 6, v5
	global_load_b64 v[6:7], v5, s[16:17] offset:8 scale_offset
	s_wait_loadcnt 0x0
	v_lshrrev_b64 v[6:7], v2, v[6:7]
	s_wait_xcnt 0x0
	v_and_b32_e32 v5, 1, v6
.LBB3_5:                                ;   in Loop: Header=BB3_3 Depth=1
	s_or_b32 exec_lo, exec_lo, s28
	ds_bpermute_b32 v6, v21, v5
	s_wait_dscnt 0x0
	s_barrier_signal -1
	s_barrier_wait -1
	v_cndmask_b32_e64 v6, v6, 0, s3
	s_delay_alu instid0(VALU_DEP_1) | instskip(SKIP_3) | instid1(VALU_DEP_1)
	v_add_nc_u32_e32 v6, v6, v5
	ds_bpermute_b32 v7, v22, v6
	s_wait_dscnt 0x0
	v_cndmask_b32_e64 v7, 0, v7, s5
	v_add_nc_u32_e32 v6, v6, v7
	ds_bpermute_b32 v7, v23, v6
	s_wait_dscnt 0x0
	v_cndmask_b32_e64 v7, 0, v7, s6
	s_delay_alu instid0(VALU_DEP_1) | instskip(SKIP_3) | instid1(VALU_DEP_1)
	v_add_nc_u32_e32 v6, v6, v7
	ds_bpermute_b32 v7, v24, v6
	s_wait_dscnt 0x0
	v_cndmask_b32_e64 v7, 0, v7, s7
	v_add_nc_u32_e32 v6, v6, v7
	ds_bpermute_b32 v7, v25, v6
	s_wait_dscnt 0x0
	v_cndmask_b32_e64 v7, 0, v7, s8
	s_delay_alu instid0(VALU_DEP_1)
	v_add_nc_u32_e32 v6, v6, v7
	s_and_saveexec_b32 s28, s9
; %bb.6:                                ;   in Loop: Header=BB3_3 Depth=1
	ds_store_b32 v15, v6
; %bb.7:                                ;   in Loop: Header=BB3_3 Depth=1
	s_or_b32 exec_lo, exec_lo, s28
	s_wait_dscnt 0x0
	s_barrier_signal -1
	s_barrier_wait -1
	s_and_saveexec_b32 s28, s0
	s_cbranch_execz .LBB3_9
; %bb.8:                                ;   in Loop: Header=BB3_3 Depth=1
	ds_load_b32 v7, v16
	s_wait_dscnt 0x0
	ds_bpermute_b32 v8, v21, v7
	s_wait_dscnt 0x0
	v_cndmask_b32_e64 v8, v8, 0, s3
	s_delay_alu instid0(VALU_DEP_1) | instskip(SKIP_3) | instid1(VALU_DEP_1)
	v_add_nc_u32_e32 v7, v8, v7
	ds_bpermute_b32 v8, v22, v7
	s_wait_dscnt 0x0
	v_cndmask_b32_e64 v8, 0, v8, s5
	v_add_nc_u32_e32 v7, v8, v7
	ds_bpermute_b32 v8, v23, v7
	s_wait_dscnt 0x0
	v_cndmask_b32_e64 v8, 0, v8, s6
	s_delay_alu instid0(VALU_DEP_1) | instskip(SKIP_3) | instid1(VALU_DEP_1)
	v_add_nc_u32_e32 v7, v8, v7
	ds_bpermute_b32 v8, v24, v7
	s_wait_dscnt 0x0
	v_cndmask_b32_e64 v8, 0, v8, s7
	v_add_nc_u32_e32 v7, v8, v7
	ds_bpermute_b32 v8, v25, v7
	s_wait_dscnt 0x0
	v_cndmask_b32_e64 v8, 0, v8, s8
	s_delay_alu instid0(VALU_DEP_1)
	v_add_nc_u32_e32 v7, v8, v7
	ds_store_b32 v16, v7
.LBB3_9:                                ;   in Loop: Header=BB3_3 Depth=1
	s_or_b32 exec_lo, exec_lo, s28
	v_cndmask_b32_e64 v8, v6, v5, s3
	s_wait_dscnt 0x0
	s_barrier_signal -1
	s_barrier_wait -1
	s_and_saveexec_b32 s28, s1
	s_cbranch_execz .LBB3_11
; %bb.10:                               ;   in Loop: Header=BB3_3 Depth=1
	ds_load_b32 v6, v19
	s_wait_dscnt 0x0
	v_add_nc_u32_e32 v8, v6, v8
.LBB3_11:                               ;   in Loop: Header=BB3_3 Depth=1
	s_or_b32 exec_lo, exec_lo, s28
	s_and_saveexec_b32 s28, s2
	s_cbranch_execz .LBB3_17
; %bb.12:                               ;   in Loop: Header=BB3_3 Depth=1
	v_mov_b32_e32 v9, s27
	s_cmp_lt_i32 s20, 1
	s_cbranch_scc1 .LBB3_16
; %bb.13:                               ;   in Loop: Header=BB3_3 Depth=1
	s_mov_b32 s29, 0
.LBB3_14:                               ;   Parent Loop BB3_3 Depth=1
                                        ; =>  This Inner Loop Header: Depth=2
	flat_load_b32 v9, v4, s[22:23] scope:SCOPE_SYS
	s_wait_loadcnt_dscnt 0x0
	v_cmp_lt_i32_e32 vcc_lo, -1, v9
	s_or_b32 s29, vcc_lo, s29
	s_wait_xcnt 0x0
	s_and_not1_b32 exec_lo, exec_lo, s29
	s_cbranch_execnz .LBB3_14
; %bb.15:                               ;   in Loop: Header=BB3_3 Depth=1
	s_or_b32 exec_lo, exec_lo, s29
.LBB3_16:                               ;   in Loop: Header=BB3_3 Depth=1
	s_delay_alu instid0(VALU_DEP_1)
	v_add_nc_u32_e32 v6, v9, v8
	flat_store_b32 v4, v6, s[14:15] scope:SCOPE_SYS
	s_wait_storecnt 0x0
	flat_store_b32 v4, v14, s[22:23] scope:SCOPE_SYS
	s_wait_storecnt 0x0
	ds_store_b64 v4, v[8:9] offset:16384
.LBB3_17:                               ;   in Loop: Header=BB3_3 Depth=1
	s_wait_xcnt 0x0
	s_or_b32 exec_lo, exec_lo, s28
	s_wait_dscnt 0x0
	s_barrier_signal -1
	s_barrier_wait -1
	ds_load_b32 v6, v4 offset:16384
	s_mov_b32 s28, exec_lo
	s_wait_dscnt 0x0
	v_cmpx_lt_i32_e64 v0, v6
	s_cbranch_execz .LBB3_19
; %bb.18:                               ;   in Loop: Header=BB3_3 Depth=1
	ds_load_b32 v6, v4 offset:16388
	s_wait_dscnt 0x0
	v_add_nc_u32_e32 v6, v6, v0
	global_load_b64 v[6:7], v6, s[16:17] scale_offset
	s_wait_loadcnt 0x0
	ds_store_b64 v17, v[6:7]
.LBB3_19:                               ;   in Loop: Header=BB3_3 Depth=1
	s_wait_xcnt 0x0
	s_or_b32 exec_lo, exec_lo, s28
	v_mov_b64_e32 v[6:7], 0
	s_mov_b32 s28, exec_lo
	s_wait_dscnt 0x0
	s_barrier_signal -1
	s_barrier_wait -1
	v_cmpx_ne_u32_e32 0, v5
; %bb.20:                               ;   in Loop: Header=BB3_3 Depth=1
	v_lshlrev_b32_e32 v5, 3, v8
	ds_load_b64 v[6:7], v5 offset:8184
; %bb.21:                               ;   in Loop: Header=BB3_3 Depth=1
	s_or_b32 exec_lo, exec_lo, s28
	s_wait_dscnt 0x0
	ds_bpermute_b32 v10, v21, v6
	ds_bpermute_b32 v5, v21, v7
	v_mov_b32_e32 v8, v6
	s_and_saveexec_b32 s28, s4
	s_cbranch_execz .LBB3_23
; %bb.22:                               ;   in Loop: Header=BB3_3 Depth=1
	v_mov_b32_e32 v11, v4
	s_wait_dscnt 0x1
	s_delay_alu instid0(VALU_DEP_1) | instskip(SKIP_1) | instid1(VALU_DEP_1)
	v_add_nc_u64_e32 v[8:9], v[6:7], v[10:11]
	s_wait_dscnt 0x0
	v_add_nc_u64_e32 v[6:7], v[4:5], v[8:9]
.LBB3_23:                               ;   in Loop: Header=BB3_3 Depth=1
	s_or_b32 exec_lo, exec_lo, s28
	s_wait_dscnt 0x1
	ds_bpermute_b32 v10, v22, v8
	s_wait_dscnt 0x1
	ds_bpermute_b32 v5, v22, v7
	s_and_saveexec_b32 s28, s5
	s_cbranch_execz .LBB3_25
; %bb.24:                               ;   in Loop: Header=BB3_3 Depth=1
	v_mov_b32_e32 v11, v4
	s_wait_dscnt 0x1
	s_delay_alu instid0(VALU_DEP_1) | instskip(SKIP_1) | instid1(VALU_DEP_1)
	v_add_nc_u64_e32 v[8:9], v[6:7], v[10:11]
	s_wait_dscnt 0x0
	v_add_nc_u64_e32 v[6:7], v[4:5], v[8:9]
.LBB3_25:                               ;   in Loop: Header=BB3_3 Depth=1
	s_or_b32 exec_lo, exec_lo, s28
	s_wait_dscnt 0x1
	ds_bpermute_b32 v10, v23, v8
	s_wait_dscnt 0x1
	ds_bpermute_b32 v5, v23, v7
	;; [unrolled: 15-line block ×3, first 2 shown]
	s_and_saveexec_b32 s28, s7
	s_cbranch_execz .LBB3_29
; %bb.28:                               ;   in Loop: Header=BB3_3 Depth=1
	v_mov_b32_e32 v11, v4
	s_wait_dscnt 0x1
	s_delay_alu instid0(VALU_DEP_1) | instskip(SKIP_1) | instid1(VALU_DEP_1)
	v_add_nc_u64_e32 v[8:9], v[6:7], v[10:11]
	s_wait_dscnt 0x0
	v_add_nc_u64_e32 v[6:7], v[4:5], v[8:9]
.LBB3_29:                               ;   in Loop: Header=BB3_3 Depth=1
	s_or_b32 exec_lo, exec_lo, s28
	ds_bpermute_b32 v8, v25, v8
	s_wait_dscnt 0x1
	ds_bpermute_b32 v5, v25, v7
	s_and_saveexec_b32 s28, s8
	s_cbranch_execz .LBB3_31
; %bb.30:                               ;   in Loop: Header=BB3_3 Depth=1
	v_mov_b32_e32 v9, v4
	s_wait_dscnt 0x1
	s_delay_alu instid0(VALU_DEP_1) | instskip(SKIP_1) | instid1(VALU_DEP_1)
	v_add_nc_u64_e32 v[6:7], v[6:7], v[8:9]
	s_wait_dscnt 0x0
	v_add_nc_u64_e32 v[6:7], v[6:7], v[4:5]
.LBB3_31:                               ;   in Loop: Header=BB3_3 Depth=1
	s_or_b32 exec_lo, exec_lo, s28
	s_and_saveexec_b32 s28, s9
; %bb.32:                               ;   in Loop: Header=BB3_3 Depth=1
	ds_store_b64 v20, v[6:7]
; %bb.33:                               ;   in Loop: Header=BB3_3 Depth=1
	s_or_b32 exec_lo, exec_lo, s28
	s_wait_dscnt 0x0
	s_barrier_signal -1
	s_barrier_wait -1
	s_and_saveexec_b32 s28, s0
	s_cbranch_execz .LBB3_45
; %bb.34:                               ;   in Loop: Header=BB3_3 Depth=1
	ds_load_b64 v[10:11], v30
	s_wait_dscnt 0x0
	ds_bpermute_b32 v12, v21, v10
	ds_bpermute_b32 v5, v21, v11
	v_mov_b64_e32 v[8:9], v[10:11]
	s_and_saveexec_b32 s29, s4
	s_cbranch_execz .LBB3_36
; %bb.35:                               ;   in Loop: Header=BB3_3 Depth=1
	v_mov_b32_e32 v13, v4
	s_wait_dscnt 0x1
	s_delay_alu instid0(VALU_DEP_1) | instskip(SKIP_1) | instid1(VALU_DEP_1)
	v_add_nc_u64_e32 v[10:11], v[10:11], v[12:13]
	s_wait_dscnt 0x0
	v_add_nc_u64_e32 v[8:9], v[4:5], v[10:11]
	s_delay_alu instid0(VALU_DEP_1)
	v_mov_b32_e32 v11, v9
.LBB3_36:                               ;   in Loop: Header=BB3_3 Depth=1
	s_or_b32 exec_lo, exec_lo, s29
	s_wait_dscnt 0x1
	ds_bpermute_b32 v12, v22, v10
	s_wait_dscnt 0x1
	ds_bpermute_b32 v5, v22, v11
	s_and_saveexec_b32 s29, s5
	s_cbranch_execz .LBB3_38
; %bb.37:                               ;   in Loop: Header=BB3_3 Depth=1
	v_mov_b32_e32 v13, v4
	s_wait_dscnt 0x1
	s_delay_alu instid0(VALU_DEP_1) | instskip(SKIP_1) | instid1(VALU_DEP_1)
	v_add_nc_u64_e32 v[10:11], v[8:9], v[12:13]
	s_wait_dscnt 0x0
	v_add_nc_u64_e32 v[8:9], v[4:5], v[10:11]
	s_delay_alu instid0(VALU_DEP_1)
	v_mov_b32_e32 v11, v9
.LBB3_38:                               ;   in Loop: Header=BB3_3 Depth=1
	s_or_b32 exec_lo, exec_lo, s29
	s_wait_dscnt 0x1
	ds_bpermute_b32 v12, v23, v10
	s_wait_dscnt 0x1
	ds_bpermute_b32 v5, v23, v11
	;; [unrolled: 17-line block ×3, first 2 shown]
	s_and_saveexec_b32 s29, s7
	s_cbranch_execz .LBB3_42
; %bb.41:                               ;   in Loop: Header=BB3_3 Depth=1
	v_mov_b32_e32 v13, v4
	s_wait_dscnt 0x1
	s_delay_alu instid0(VALU_DEP_1) | instskip(SKIP_1) | instid1(VALU_DEP_1)
	v_add_nc_u64_e32 v[10:11], v[8:9], v[12:13]
	s_wait_dscnt 0x0
	v_add_nc_u64_e32 v[8:9], v[4:5], v[10:11]
	s_delay_alu instid0(VALU_DEP_1)
	v_mov_b32_e32 v11, v9
.LBB3_42:                               ;   in Loop: Header=BB3_3 Depth=1
	s_or_b32 exec_lo, exec_lo, s29
	ds_bpermute_b32 v10, v25, v10
	s_wait_dscnt 0x1
	ds_bpermute_b32 v5, v25, v11
	s_and_saveexec_b32 s29, s8
	s_cbranch_execz .LBB3_44
; %bb.43:                               ;   in Loop: Header=BB3_3 Depth=1
	v_mov_b32_e32 v11, v4
	s_wait_dscnt 0x1
	s_delay_alu instid0(VALU_DEP_1) | instskip(SKIP_1) | instid1(VALU_DEP_1)
	v_add_nc_u64_e32 v[8:9], v[8:9], v[10:11]
	s_wait_dscnt 0x0
	v_add_nc_u64_e32 v[8:9], v[8:9], v[4:5]
.LBB3_44:                               ;   in Loop: Header=BB3_3 Depth=1
	s_or_b32 exec_lo, exec_lo, s29
	ds_store_b64 v30, v[8:9]
.LBB3_45:                               ;   in Loop: Header=BB3_3 Depth=1
	s_or_b32 exec_lo, exec_lo, s28
	s_wait_dscnt 0x0
	s_barrier_signal -1
	s_barrier_wait -1
	s_and_saveexec_b32 s28, s1
	s_cbranch_execz .LBB3_47
; %bb.46:                               ;   in Loop: Header=BB3_3 Depth=1
	ds_load_b64 v[8:9], v26
	s_wait_dscnt 0x0
	v_add_nc_u64_e32 v[6:7], v[8:9], v[6:7]
.LBB3_47:                               ;   in Loop: Header=BB3_3 Depth=1
	s_or_b32 exec_lo, exec_lo, s28
	v_mov_b64_e32 v[8:9], 0
	s_mov_b32 s28, 0
	ds_store_b64 v17, v[6:7]
	s_wait_dscnt 0x0
	s_barrier_signal -1
	s_barrier_wait -1
.LBB3_48:                               ;   Parent Loop BB3_3 Depth=1
                                        ; =>  This Inner Loop Header: Depth=2
	v_add_nc_u32_e32 v5, s28, v18
	s_sub_co_i32 s28, s28, 64
	ds_load_2addr_b64 v[10:13], v5 offset0:6 offset1:7
	ds_load_2addr_b64 v[32:35], v5 offset0:4 offset1:5
	s_cmp_eq_u32 s28, 0xfffffe00
	s_wait_dscnt 0x1
	v_lshrrev_b64 v[6:7], v2, v[12:13]
	v_lshlrev_b64_e32 v[12:13], 2, v[8:9]
	v_lshrrev_b64 v[8:9], v2, v[10:11]
	s_wait_dscnt 0x0
	v_lshrrev_b64 v[10:11], v2, v[34:35]
	v_lshrrev_b64 v[32:33], v2, v[32:33]
	s_delay_alu instid0(VALU_DEP_3) | instskip(NEXT) | instid1(VALU_DEP_2)
	v_dual_lshlrev_b32 v6, 1, v6 :: v_dual_bitop2_b32 v36, 1, v8 bitop3:0x40
	v_dual_lshlrev_b32 v10, 1, v10 :: v_dual_bitop2_b32 v32, 1, v32 bitop3:0x40
	s_delay_alu instid0(VALU_DEP_2) | instskip(SKIP_2) | instid1(VALU_DEP_1)
	v_and_or_b32 v12, v6, 2, v12
	ds_load_2addr_b64 v[6:9], v5 offset0:2 offset1:3
	v_or_b32_e32 v12, v36, v12
	v_lshlrev_b64_e32 v[34:35], 2, v[12:13]
	s_delay_alu instid0(VALU_DEP_1)
	v_and_or_b32 v33, v10, 2, v34
	ds_load_2addr_b64 v[10:13], v5 offset1:1
	s_wait_dscnt 0x1
	v_lshrrev_b64 v[8:9], v2, v[8:9]
	v_or_b32_e32 v34, v32, v33
	v_lshrrev_b64 v[6:7], v2, v[6:7]
	s_delay_alu instid0(VALU_DEP_3) | instskip(NEXT) | instid1(VALU_DEP_3)
	v_lshlrev_b32_e32 v5, 1, v8
	v_lshlrev_b64_e32 v[32:33], 2, v[34:35]
	s_delay_alu instid0(VALU_DEP_3) | instskip(NEXT) | instid1(VALU_DEP_2)
	v_and_b32_e32 v8, 1, v6
	v_and_or_b32 v5, v5, 2, v32
	s_wait_dscnt 0x0
	v_lshrrev_b64 v[6:7], v2, v[12:13]
	v_lshrrev_b64 v[10:11], v2, v[10:11]
	s_delay_alu instid0(VALU_DEP_2) | instskip(NEXT) | instid1(VALU_DEP_1)
	v_dual_lshlrev_b32 v5, 1, v6 :: v_dual_bitop2_b32 v32, v8, v5 bitop3:0x54
	v_lshlrev_b64_e32 v[8:9], 2, v[32:33]
	s_delay_alu instid0(VALU_DEP_3) | instskip(NEXT) | instid1(VALU_DEP_2)
	v_and_b32_e32 v6, 1, v10
	v_and_or_b32 v5, v5, 2, v8
	s_delay_alu instid0(VALU_DEP_1)
	v_or_b32_e32 v8, v6, v5
	s_cbranch_scc0 .LBB3_48
; %bb.49:                               ;   in Loop: Header=BB3_3 Depth=1
	s_and_not1_b32 vcc_lo, exec_lo, s21
	s_mov_b32 s28, s18
	s_cbranch_vccnz .LBB3_54
.LBB3_50:                               ;   Parent Loop BB3_3 Depth=1
                                        ; =>  This Inner Loop Header: Depth=2
	s_wait_dscnt 0x0
	v_subrev_nc_u32_e32 v5, s28, v3
	s_mov_b32 s29, exec_lo
	s_delay_alu instid0(VALU_DEP_1) | instskip(SKIP_1) | instid1(VALU_DEP_1)
	v_cmp_gt_i32_e32 vcc_lo, 0, v5
	v_cndmask_b32_e32 v5, v5, v3, vcc_lo
	v_lshlrev_b32_e32 v5, 2, v5
	ds_bpermute_b32 v6, v5, v8
	ds_bpermute_b32 v5, v5, v9
	v_cmpx_le_u32_e64 s28, v1
	s_cbranch_execz .LBB3_52
; %bb.51:                               ;   in Loop: Header=BB3_50 Depth=2
	v_mov_b32_e32 v7, v4
	s_wait_dscnt 0x1
	s_delay_alu instid0(VALU_DEP_1) | instskip(SKIP_1) | instid1(VALU_DEP_1)
	v_add_nc_u64_e32 v[6:7], v[8:9], v[6:7]
	s_wait_dscnt 0x0
	v_add_nc_u64_e32 v[8:9], v[6:7], v[4:5]
.LBB3_52:                               ;   in Loop: Header=BB3_50 Depth=2
	s_or_b32 exec_lo, exec_lo, s29
	s_lshl_b32 s29, s28, 1
	s_cmp_gt_u32 s28, 15
	s_cbranch_scc1 .LBB3_54
; %bb.53:                               ;   in Loop: Header=BB3_50 Depth=2
	s_mov_b32 s28, s29
	s_branch .LBB3_50
.LBB3_54:                               ;   in Loop: Header=BB3_3 Depth=1
	s_and_saveexec_b32 s28, s11
; %bb.55:                               ;   in Loop: Header=BB3_3 Depth=1
	ds_store_b64 v28, v[8:9]
; %bb.56:                               ;   in Loop: Header=BB3_3 Depth=1
	s_or_b32 exec_lo, exec_lo, s28
	s_wait_dscnt 0x0
	s_barrier_signal -1
	s_barrier_wait -1
	s_and_saveexec_b32 s28, s10
	s_cbranch_execz .LBB3_68
; %bb.57:                               ;   in Loop: Header=BB3_3 Depth=1
	ds_load_b64 v[10:11], v27
	s_wait_dscnt 0x0
	ds_bpermute_b32 v12, v21, v10
	ds_bpermute_b32 v5, v21, v11
	v_mov_b64_e32 v[6:7], v[10:11]
	s_and_saveexec_b32 s29, s4
	s_cbranch_execz .LBB3_59
; %bb.58:                               ;   in Loop: Header=BB3_3 Depth=1
	v_mov_b32_e32 v13, v4
	s_wait_dscnt 0x1
	s_delay_alu instid0(VALU_DEP_1) | instskip(SKIP_1) | instid1(VALU_DEP_1)
	v_add_nc_u64_e32 v[10:11], v[10:11], v[12:13]
	s_wait_dscnt 0x0
	v_add_nc_u64_e32 v[6:7], v[4:5], v[10:11]
	s_delay_alu instid0(VALU_DEP_1)
	v_mov_b32_e32 v11, v7
.LBB3_59:                               ;   in Loop: Header=BB3_3 Depth=1
	s_or_b32 exec_lo, exec_lo, s29
	s_wait_dscnt 0x1
	ds_bpermute_b32 v12, v22, v10
	s_wait_dscnt 0x1
	ds_bpermute_b32 v5, v22, v11
	s_and_saveexec_b32 s29, s5
	s_cbranch_execz .LBB3_61
; %bb.60:                               ;   in Loop: Header=BB3_3 Depth=1
	v_mov_b32_e32 v13, v4
	s_wait_dscnt 0x1
	s_delay_alu instid0(VALU_DEP_1) | instskip(SKIP_1) | instid1(VALU_DEP_1)
	v_add_nc_u64_e32 v[10:11], v[6:7], v[12:13]
	s_wait_dscnt 0x0
	v_add_nc_u64_e32 v[6:7], v[4:5], v[10:11]
	s_delay_alu instid0(VALU_DEP_1)
	v_mov_b32_e32 v11, v7
.LBB3_61:                               ;   in Loop: Header=BB3_3 Depth=1
	s_or_b32 exec_lo, exec_lo, s29
	s_wait_dscnt 0x1
	ds_bpermute_b32 v12, v23, v10
	s_wait_dscnt 0x1
	ds_bpermute_b32 v5, v23, v11
	;; [unrolled: 17-line block ×3, first 2 shown]
	s_and_saveexec_b32 s29, s7
	s_cbranch_execz .LBB3_65
; %bb.64:                               ;   in Loop: Header=BB3_3 Depth=1
	v_mov_b32_e32 v13, v4
	s_wait_dscnt 0x1
	s_delay_alu instid0(VALU_DEP_1) | instskip(SKIP_1) | instid1(VALU_DEP_1)
	v_add_nc_u64_e32 v[10:11], v[6:7], v[12:13]
	s_wait_dscnt 0x0
	v_add_nc_u64_e32 v[6:7], v[4:5], v[10:11]
	s_delay_alu instid0(VALU_DEP_1)
	v_mov_b32_e32 v11, v7
.LBB3_65:                               ;   in Loop: Header=BB3_3 Depth=1
	s_or_b32 exec_lo, exec_lo, s29
	ds_bpermute_b32 v10, v25, v10
	s_wait_dscnt 0x1
	ds_bpermute_b32 v5, v25, v11
	s_and_saveexec_b32 s29, s8
	s_cbranch_execz .LBB3_67
; %bb.66:                               ;   in Loop: Header=BB3_3 Depth=1
	v_mov_b32_e32 v11, v4
	s_wait_dscnt 0x1
	s_delay_alu instid0(VALU_DEP_1) | instskip(SKIP_1) | instid1(VALU_DEP_1)
	v_add_nc_u64_e32 v[6:7], v[6:7], v[10:11]
	s_wait_dscnt 0x0
	v_add_nc_u64_e32 v[6:7], v[6:7], v[4:5]
.LBB3_67:                               ;   in Loop: Header=BB3_3 Depth=1
	s_or_b32 exec_lo, exec_lo, s29
	ds_store_b64 v27, v[6:7]
.LBB3_68:                               ;   in Loop: Header=BB3_3 Depth=1
	s_or_b32 exec_lo, exec_lo, s28
	s_wait_dscnt 0x0
	s_barrier_signal -1
	s_barrier_wait -1
	s_and_saveexec_b32 s28, s1
	s_cbranch_execnz .LBB3_70
; %bb.69:                               ;   in Loop: Header=BB3_3 Depth=1
	s_or_b32 exec_lo, exec_lo, s28
	s_delay_alu instid0(SALU_CYCLE_1)
	s_mov_b32 s28, exec_lo
	v_cmpx_gt_i32_e64 s19, v31
	s_cbranch_execz .LBB3_2
	s_branch .LBB3_71
.LBB3_70:                               ;   in Loop: Header=BB3_3 Depth=1
	ds_load_b64 v[6:7], v29
	s_wait_dscnt 0x0
	v_add_nc_u64_e32 v[8:9], v[6:7], v[8:9]
	s_or_b32 exec_lo, exec_lo, s28
	s_delay_alu instid0(SALU_CYCLE_1)
	s_mov_b32 s28, exec_lo
	v_cmpx_gt_i32_e64 s19, v31
	s_cbranch_execz .LBB3_2
.LBB3_71:                               ;   in Loop: Header=BB3_3 Depth=1
	global_store_b64 v31, v[8:9], s[12:13] scale_offset
	s_branch .LBB3_2
.LBB3_72:
	s_endpgm
	.section	.rodata,"a",@progbits
	.p2align	6, 0x0
	.amdhsa_kernel _ZL13MPCdecompressILi32EEvPlS0_PVi
		.amdhsa_group_segment_fixed_size 16392
		.amdhsa_private_segment_fixed_size 0
		.amdhsa_kernarg_size 280
		.amdhsa_user_sgpr_count 2
		.amdhsa_user_sgpr_dispatch_ptr 0
		.amdhsa_user_sgpr_queue_ptr 0
		.amdhsa_user_sgpr_kernarg_segment_ptr 1
		.amdhsa_user_sgpr_dispatch_id 0
		.amdhsa_user_sgpr_kernarg_preload_length 0
		.amdhsa_user_sgpr_kernarg_preload_offset 0
		.amdhsa_user_sgpr_private_segment_size 0
		.amdhsa_wavefront_size32 1
		.amdhsa_uses_dynamic_stack 0
		.amdhsa_enable_private_segment 0
		.amdhsa_system_sgpr_workgroup_id_x 1
		.amdhsa_system_sgpr_workgroup_id_y 0
		.amdhsa_system_sgpr_workgroup_id_z 0
		.amdhsa_system_sgpr_workgroup_info 0
		.amdhsa_system_vgpr_workitem_id 0
		.amdhsa_next_free_vgpr 37
		.amdhsa_next_free_sgpr 31
		.amdhsa_named_barrier_count 0
		.amdhsa_reserve_vcc 1
		.amdhsa_float_round_mode_32 0
		.amdhsa_float_round_mode_16_64 0
		.amdhsa_float_denorm_mode_32 3
		.amdhsa_float_denorm_mode_16_64 3
		.amdhsa_fp16_overflow 0
		.amdhsa_memory_ordered 1
		.amdhsa_forward_progress 1
		.amdhsa_inst_pref_size 24
		.amdhsa_round_robin_scheduling 0
		.amdhsa_exception_fp_ieee_invalid_op 0
		.amdhsa_exception_fp_denorm_src 0
		.amdhsa_exception_fp_ieee_div_zero 0
		.amdhsa_exception_fp_ieee_overflow 0
		.amdhsa_exception_fp_ieee_underflow 0
		.amdhsa_exception_fp_ieee_inexact 0
		.amdhsa_exception_int_div_zero 0
	.end_amdhsa_kernel
	.section	.text._ZL13MPCdecompressILi32EEvPlS0_PVi,"axG",@progbits,_ZL13MPCdecompressILi32EEvPlS0_PVi,comdat
.Lfunc_end3:
	.size	_ZL13MPCdecompressILi32EEvPlS0_PVi, .Lfunc_end3-_ZL13MPCdecompressILi32EEvPlS0_PVi
                                        ; -- End function
	.set _ZL13MPCdecompressILi32EEvPlS0_PVi.num_vgpr, 37
	.set _ZL13MPCdecompressILi32EEvPlS0_PVi.num_agpr, 0
	.set _ZL13MPCdecompressILi32EEvPlS0_PVi.numbered_sgpr, 31
	.set _ZL13MPCdecompressILi32EEvPlS0_PVi.num_named_barrier, 0
	.set _ZL13MPCdecompressILi32EEvPlS0_PVi.private_seg_size, 0
	.set _ZL13MPCdecompressILi32EEvPlS0_PVi.uses_vcc, 1
	.set _ZL13MPCdecompressILi32EEvPlS0_PVi.uses_flat_scratch, 0
	.set _ZL13MPCdecompressILi32EEvPlS0_PVi.has_dyn_sized_stack, 0
	.set _ZL13MPCdecompressILi32EEvPlS0_PVi.has_recursion, 0
	.set _ZL13MPCdecompressILi32EEvPlS0_PVi.has_indirect_call, 0
	.section	.AMDGPU.csdata,"",@progbits
; Kernel info:
; codeLenInByte = 3024
; TotalNumSgprs: 33
; NumVgprs: 37
; ScratchSize: 0
; MemoryBound: 0
; FloatMode: 240
; IeeeMode: 1
; LDSByteSize: 16392 bytes/workgroup (compile time only)
; SGPRBlocks: 0
; VGPRBlocks: 2
; NumSGPRsForWavesPerEU: 33
; NumVGPRsForWavesPerEU: 37
; NamedBarCnt: 0
; Occupancy: 16
; WaveLimiterHint : 0
; COMPUTE_PGM_RSRC2:SCRATCH_EN: 0
; COMPUTE_PGM_RSRC2:USER_SGPR: 2
; COMPUTE_PGM_RSRC2:TRAP_HANDLER: 0
; COMPUTE_PGM_RSRC2:TGID_X_EN: 1
; COMPUTE_PGM_RSRC2:TGID_Y_EN: 0
; COMPUTE_PGM_RSRC2:TGID_Z_EN: 0
; COMPUTE_PGM_RSRC2:TIDIG_COMP_CNT: 0
	.section	.AMDGPU.gpr_maximums,"",@progbits
	.set amdgpu.max_num_vgpr, 0
	.set amdgpu.max_num_agpr, 0
	.set amdgpu.max_num_sgpr, 0
	.section	.AMDGPU.csdata,"",@progbits
	.type	__hip_cuid_e80de05fda3004ee,@object ; @__hip_cuid_e80de05fda3004ee
	.section	.bss,"aw",@nobits
	.globl	__hip_cuid_e80de05fda3004ee
__hip_cuid_e80de05fda3004ee:
	.byte	0                               ; 0x0
	.size	__hip_cuid_e80de05fda3004ee, 1

	.ident	"AMD clang version 22.0.0git (https://github.com/RadeonOpenCompute/llvm-project roc-7.2.4 26084 f58b06dce1f9c15707c5f808fd002e18c2accf7e)"
	.section	".note.GNU-stack","",@progbits
	.addrsig
	.addrsig_sym __hip_cuid_e80de05fda3004ee
	.amdgpu_metadata
---
amdhsa.kernels:
  - .args:
      - .offset:         0
        .size:           4
        .value_kind:     by_value
      - .actual_access:  read_only
        .address_space:  global
        .offset:         8
        .size:           8
        .value_kind:     global_buffer
      - .actual_access:  write_only
        .address_space:  global
        .offset:         16
        .size:           8
        .value_kind:     global_buffer
      - .address_space:  global
        .offset:         24
        .size:           8
        .value_kind:     global_buffer
      - .offset:         32
        .size:           1
        .value_kind:     by_value
      - .offset:         40
        .size:           4
        .value_kind:     hidden_block_count_x
      - .offset:         44
        .size:           4
        .value_kind:     hidden_block_count_y
      - .offset:         48
        .size:           4
        .value_kind:     hidden_block_count_z
      - .offset:         52
        .size:           2
        .value_kind:     hidden_group_size_x
      - .offset:         54
        .size:           2
        .value_kind:     hidden_group_size_y
      - .offset:         56
        .size:           2
        .value_kind:     hidden_group_size_z
      - .offset:         58
        .size:           2
        .value_kind:     hidden_remainder_x
      - .offset:         60
        .size:           2
        .value_kind:     hidden_remainder_y
      - .offset:         62
        .size:           2
        .value_kind:     hidden_remainder_z
      - .offset:         80
        .size:           8
        .value_kind:     hidden_global_offset_x
      - .offset:         88
        .size:           8
        .value_kind:     hidden_global_offset_y
      - .offset:         96
        .size:           8
        .value_kind:     hidden_global_offset_z
      - .offset:         104
        .size:           2
        .value_kind:     hidden_grid_dims
    .group_segment_fixed_size: 16392
    .kernarg_segment_align: 8
    .kernarg_segment_size: 296
    .language:       OpenCL C
    .language_version:
      - 2
      - 0
    .max_flat_workgroup_size: 1024
    .name:           _ZL11MPCcompressILi64EEviPlS0_PVih
    .private_segment_fixed_size: 0
    .sgpr_count:     31
    .sgpr_spill_count: 0
    .symbol:         _ZL11MPCcompressILi64EEviPlS0_PVih.kd
    .uniform_work_group_size: 1
    .uses_dynamic_stack: false
    .vgpr_count:     33
    .vgpr_spill_count: 0
    .wavefront_size: 32
  - .args:
      - .offset:         0
        .size:           4
        .value_kind:     by_value
      - .actual_access:  read_only
        .address_space:  global
        .offset:         8
        .size:           8
        .value_kind:     global_buffer
      - .actual_access:  write_only
        .address_space:  global
        .offset:         16
        .size:           8
        .value_kind:     global_buffer
      - .address_space:  global
        .offset:         24
        .size:           8
        .value_kind:     global_buffer
      - .offset:         32
        .size:           1
        .value_kind:     by_value
      - .offset:         40
        .size:           4
        .value_kind:     hidden_block_count_x
      - .offset:         44
        .size:           4
        .value_kind:     hidden_block_count_y
      - .offset:         48
        .size:           4
        .value_kind:     hidden_block_count_z
      - .offset:         52
        .size:           2
        .value_kind:     hidden_group_size_x
      - .offset:         54
        .size:           2
        .value_kind:     hidden_group_size_y
      - .offset:         56
        .size:           2
        .value_kind:     hidden_group_size_z
      - .offset:         58
        .size:           2
        .value_kind:     hidden_remainder_x
      - .offset:         60
        .size:           2
        .value_kind:     hidden_remainder_y
      - .offset:         62
        .size:           2
        .value_kind:     hidden_remainder_z
      - .offset:         80
        .size:           8
        .value_kind:     hidden_global_offset_x
      - .offset:         88
        .size:           8
        .value_kind:     hidden_global_offset_y
      - .offset:         96
        .size:           8
        .value_kind:     hidden_global_offset_z
      - .offset:         104
        .size:           2
        .value_kind:     hidden_grid_dims
    .group_segment_fixed_size: 16392
    .kernarg_segment_align: 8
    .kernarg_segment_size: 296
    .language:       OpenCL C
    .language_version:
      - 2
      - 0
    .max_flat_workgroup_size: 1024
    .name:           _ZL11MPCcompressILi32EEviPlS0_PVih
    .private_segment_fixed_size: 0
    .sgpr_count:     38
    .sgpr_spill_count: 0
    .symbol:         _ZL11MPCcompressILi32EEviPlS0_PVih.kd
    .uniform_work_group_size: 1
    .uses_dynamic_stack: false
    .vgpr_count:     32
    .vgpr_spill_count: 0
    .wavefront_size: 32
  - .args:
      - .actual_access:  read_only
        .address_space:  global
        .offset:         0
        .size:           8
        .value_kind:     global_buffer
      - .actual_access:  write_only
        .address_space:  global
        .offset:         8
        .size:           8
        .value_kind:     global_buffer
      - .address_space:  global
        .offset:         16
        .size:           8
        .value_kind:     global_buffer
      - .offset:         24
        .size:           4
        .value_kind:     hidden_block_count_x
      - .offset:         28
        .size:           4
        .value_kind:     hidden_block_count_y
      - .offset:         32
        .size:           4
        .value_kind:     hidden_block_count_z
      - .offset:         36
        .size:           2
        .value_kind:     hidden_group_size_x
      - .offset:         38
        .size:           2
        .value_kind:     hidden_group_size_y
      - .offset:         40
        .size:           2
        .value_kind:     hidden_group_size_z
      - .offset:         42
        .size:           2
        .value_kind:     hidden_remainder_x
      - .offset:         44
        .size:           2
        .value_kind:     hidden_remainder_y
      - .offset:         46
        .size:           2
        .value_kind:     hidden_remainder_z
      - .offset:         64
        .size:           8
        .value_kind:     hidden_global_offset_x
      - .offset:         72
        .size:           8
        .value_kind:     hidden_global_offset_y
      - .offset:         80
        .size:           8
        .value_kind:     hidden_global_offset_z
      - .offset:         88
        .size:           2
        .value_kind:     hidden_grid_dims
    .group_segment_fixed_size: 16392
    .kernarg_segment_align: 8
    .kernarg_segment_size: 280
    .language:       OpenCL C
    .language_version:
      - 2
      - 0
    .max_flat_workgroup_size: 1024
    .name:           _ZL13MPCdecompressILi64EEvPlS0_PVi
    .private_segment_fixed_size: 0
    .sgpr_count:     38
    .sgpr_spill_count: 0
    .symbol:         _ZL13MPCdecompressILi64EEvPlS0_PVi.kd
    .uniform_work_group_size: 1
    .uses_dynamic_stack: false
    .vgpr_count:     37
    .vgpr_spill_count: 0
    .wavefront_size: 32
  - .args:
      - .actual_access:  read_only
        .address_space:  global
        .offset:         0
        .size:           8
        .value_kind:     global_buffer
      - .actual_access:  write_only
        .address_space:  global
        .offset:         8
        .size:           8
        .value_kind:     global_buffer
      - .address_space:  global
        .offset:         16
        .size:           8
        .value_kind:     global_buffer
      - .offset:         24
        .size:           4
        .value_kind:     hidden_block_count_x
      - .offset:         28
        .size:           4
        .value_kind:     hidden_block_count_y
      - .offset:         32
        .size:           4
        .value_kind:     hidden_block_count_z
      - .offset:         36
        .size:           2
        .value_kind:     hidden_group_size_x
      - .offset:         38
        .size:           2
        .value_kind:     hidden_group_size_y
      - .offset:         40
        .size:           2
        .value_kind:     hidden_group_size_z
      - .offset:         42
        .size:           2
        .value_kind:     hidden_remainder_x
      - .offset:         44
        .size:           2
        .value_kind:     hidden_remainder_y
      - .offset:         46
        .size:           2
        .value_kind:     hidden_remainder_z
      - .offset:         64
        .size:           8
        .value_kind:     hidden_global_offset_x
      - .offset:         72
        .size:           8
        .value_kind:     hidden_global_offset_y
      - .offset:         80
        .size:           8
        .value_kind:     hidden_global_offset_z
      - .offset:         88
        .size:           2
        .value_kind:     hidden_grid_dims
    .group_segment_fixed_size: 16392
    .kernarg_segment_align: 8
    .kernarg_segment_size: 280
    .language:       OpenCL C
    .language_version:
      - 2
      - 0
    .max_flat_workgroup_size: 1024
    .name:           _ZL13MPCdecompressILi32EEvPlS0_PVi
    .private_segment_fixed_size: 0
    .sgpr_count:     33
    .sgpr_spill_count: 0
    .symbol:         _ZL13MPCdecompressILi32EEvPlS0_PVi.kd
    .uniform_work_group_size: 1
    .uses_dynamic_stack: false
    .vgpr_count:     37
    .vgpr_spill_count: 0
    .wavefront_size: 32
amdhsa.target:   amdgcn-amd-amdhsa--gfx1250
amdhsa.version:
  - 1
  - 2
...

	.end_amdgpu_metadata
